;; amdgpu-corpus repo=ROCm/aiter kind=harvested arch=n/a opt=n/a

/root/src/amdgpu-assembly/repos/ROCm__aiter/hsa/gfx950/topksoftmax/topksoftmax_4x384x8.co:	file format elf64-amdgpu

Disassembly of section .text:

0000000000001c00 <_ZN5aiter19topksoftmax_4x384x8E>:
	s_and_b32 s1, s1, 0xffff                                   // 000000001C00: 8601FF01 0000FFFF
	s_load_dwordx2 s[4:5], s[0:1], 0x0                         // 000000001C08: C0060100 00000000
	s_load_dwordx2 s[8:9], s[0:1], 0x10                        // 000000001C10: C0060200 00000010
	s_load_dwordx2 s[12:13], s[0:1], 0x20                      // 000000001C18: C0060300 00000020
	s_load_dword s16, s[0:1], 0x30                             // 000000001C20: C0020400 00000030
	s_load_dword s17, s[0:1], 0x40                             // 000000001C28: C0020440 00000040
	s_load_dword s18, s[0:1], 0x50                             // 000000001C30: C0020480 00000050
	s_load_dword s66, s[0:1], 0x60                             // 000000001C38: C0021080 00000060
	s_load_dword s67, s[0:1], 0x70                             // 000000001C40: C00210C0 00000070
	v_lshrrev_b32_e32 v1, 10, v0                               // 000000001C48: 2002008A
	v_lshrrev_b32_e32 v2, 10, v1                               // 000000001C4C: 2004028A
	v_and_b32_e32 v2, 0x3ff, v2                                // 000000001C50: 260404FF 000003FF
	v_and_b32_e32 v1, 0x3ff, v1                                // 000000001C58: 260202FF 000003FF
	v_and_b32_e32 v0, 0x3ff, v0                                // 000000001C60: 260000FF 000003FF
	v_lshrrev_b32_e32 v3, 6, v0                                // 000000001C68: 20060086
	v_and_b32_e32 v0, 63, v0                                   // 000000001C6C: 260000BF
	s_mov_b32 s19, s2                                          // 000000001C70: BE930002
	v_readfirstlane_b32 s64, v3                                // 000000001C74: 7E800503
	s_waitcnt lgkmcnt(0)                                       // 000000001C78: BF8CC07F
	s_mov_b32 s6, -16                                          // 000000001C7C: BE8600D0
	s_mov_b32 s10, -16                                         // 000000001C80: BE8A00D0
	s_mov_b32 s14, -16                                         // 000000001C84: BE8E00D0
	s_mov_b32 s7, 0x20000                                      // 000000001C88: BE8700FF 00020000
	s_mov_b32 s11, 0x20000                                     // 000000001C90: BE8B00FF 00020000
	s_mov_b32 s15, 0x20000                                     // 000000001C98: BE8F00FF 00020000
	s_and_b32 s5, s5, 0xffff                                   // 000000001CA0: 8605FF05 0000FFFF
	s_and_b32 s9, s9, 0xffff                                   // 000000001CA8: 8609FF09 0000FFFF
	s_and_b32 s13, s13, 0xffff                                 // 000000001CB0: 860DFF0D 0000FFFF
	s_or_b32 s5, s5, 0x40000                                   // 000000001CB8: 8705FF05 00040000
	s_or_b32 s9, s9, 0x40000                                   // 000000001CC0: 8709FF09 00040000
	s_or_b32 s13, s13, 0x40000                                 // 000000001CC8: 870DFF0D 00040000
	s_mul_i32 s20, s16, s17                                    // 000000001CD0: 92141110
	s_mul_i32 s20, s20, 4                                      // 000000001CD4: 92148414
	s_mov_b32 s14, s20                                         // 000000001CD8: BE8E0014
	v_lshlrev_b32_e32 v8, 2, v0                                // 000000001CDC: 24100082
	s_mul_i32 s20, s17, 4                                      // 000000001CE0: 92148411
	s_mul_i32 s21, s19, 4                                      // 000000001CE4: 92158413
	s_add_i32 s21, s21, s64                                    // 000000001CE8: 81154015
	s_mul_i32 s20, s20, s21                                    // 000000001CEC: 92141514
	v_add_u32_e32 v8, s20, v8                                  // 000000001CF0: 68101014
	buffer_load_dword v11, v8, s[12:15], 0 offen               // 000000001CF4: E0501000 80030B08
	buffer_load_dword v12, v8, s[12:15], 0 offen offset:256    // 000000001CFC: E0501100 80030C08
	buffer_load_dword v13, v8, s[12:15], 0 offen offset:512    // 000000001D04: E0501200 80030D08
	buffer_load_dword v14, v8, s[12:15], 0 offen offset:768    // 000000001D0C: E0501300 80030E08
	buffer_load_dword v15, v8, s[12:15], 0 offen offset:1024   // 000000001D14: E0501400 80030F08
	buffer_load_dword v16, v8, s[12:15], 0 offen offset:1280   // 000000001D1C: E0501500 80031008
	v_mov_b32_e32 v19, 0                                       // 000000001D24: 7E260280
	v_mov_b32_e32 v20, 0                                       // 000000001D28: 7E280280
	v_mov_b32_e32 v21, 0                                       // 000000001D2C: 7E2A0280
	v_mov_b32_e32 v22, 0                                       // 000000001D30: 7E2C0280
	v_mov_b32_e32 v17, 0                                       // 000000001D34: 7E220280
	v_mov_b32_e32 v18, 0                                       // 000000001D38: 7E240280
	v_mov_b32_e32 v23, 0                                       // 000000001D3C: 7E2E0280
	s_mov_b32 s18, 8                                           // 000000001D40: BE920088
	v_lshlrev_b32_e32 v9, 2, v0                                // 000000001D44: 24120082
	s_mov_b32 s20, s67                                         // 000000001D48: BE940043
	s_mul_i32 s21, s19, 4                                      // 000000001D4C: 92158413
	s_add_i32 s21, s21, s64                                    // 000000001D50: 81154015
	s_mul_i32 s20, s20, s21                                    // 000000001D54: 92141514
	v_add_u32_e32 v9, s20, v9                                  // 000000001D58: 68121214
	v_mov_b32_e32 v10, v9                                      // 000000001D5C: 7E140309
	s_mul_i32 s20, s16, s67                                    // 000000001D60: 92144310
	s_mov_b32 s6, s20                                          // 000000001D64: BE860014
	s_mov_b32 s10, s20                                         // 000000001D68: BE8A0014
	s_mov_b32 s65, 0x3fb8aa3b                                  // 000000001D6C: BEC100FF 3FB8AA3B
	s_mov_b32 s48, 0                                           // 000000001D74: BEB00080
	s_mov_b32 s56, 1                                           // 000000001D78: BEB80081
	s_mov_b32 s49, 0                                           // 000000001D7C: BEB10080
	s_mov_b32 s57, 1                                           // 000000001D80: BEB90081
	s_mov_b32 s50, 0                                           // 000000001D84: BEB20080
	s_mov_b32 s58, 1                                           // 000000001D88: BEBA0081
	s_mov_b32 s51, 0                                           // 000000001D8C: BEB30080
	s_mov_b32 s59, 1                                           // 000000001D90: BEBB0081
	s_mov_b32 s52, 0                                           // 000000001D94: BEB40080
	s_mov_b32 s60, 1                                           // 000000001D98: BEBC0081
	s_mov_b32 s53, 0                                           // 000000001D9C: BEB50080
	s_mov_b32 s61, 1                                           // 000000001DA0: BEBD0081
	s_mov_b32 s54, 0                                           // 000000001DA4: BEB60080
	s_mov_b32 s62, 1                                           // 000000001DA8: BEBE0081
	s_mov_b32 s55, 0                                           // 000000001DAC: BEB70080
	s_mov_b32 s63, 1                                           // 000000001DB0: BEBF0081
	s_waitcnt vmcnt(0) expcnt(0) lgkmcnt(0)                    // 000000001DB4: BF8C0000
	v_mul_f32_e64 v11, v11, s65                                // 000000001DB8: D105000B 0000830B
	v_exp_f32_e32 v11, v11                                     // 000000001DC0: 7E16410B
	v_mul_f32_e64 v12, v12, s65                                // 000000001DC4: D105000C 0000830C
	v_exp_f32_e32 v12, v12                                     // 000000001DCC: 7E18410C
	v_mul_f32_e64 v13, v13, s65                                // 000000001DD0: D105000D 0000830D
	v_exp_f32_e32 v13, v13                                     // 000000001DD8: 7E1A410D
	v_mul_f32_e64 v14, v14, s65                                // 000000001DDC: D105000E 0000830E
	v_exp_f32_e32 v14, v14                                     // 000000001DE4: 7E1C410E
	v_mul_f32_e64 v15, v15, s65                                // 000000001DE8: D105000F 0000830F
	v_exp_f32_e32 v15, v15                                     // 000000001DF0: 7E1E410F
	v_mul_f32_e64 v16, v16, s65                                // 000000001DF4: D1050010 00008310
	v_exp_f32_e32 v16, v16                                     // 000000001DFC: 7E204110
	s_nop 0                                                    // 000000001E00: BF800000
	v_add_f32_e32 v19, v19, v11                                // 000000001E04: 02261713
	v_add_f32_e32 v19, v19, v12                                // 000000001E08: 02261913
	v_add_f32_e32 v19, v19, v13                                // 000000001E0C: 02261B13
	v_add_f32_e32 v19, v19, v14                                // 000000001E10: 02261D13
	v_add_f32_e32 v19, v19, v15                                // 000000001E14: 02261F13
	v_add_f32_e32 v19, v19, v16                                // 000000001E18: 02262113
	s_nop 1                                                    // 000000001E1C: BF800001
	v_add_f32_dpp v4, v19, v19 quad_perm:[1,0,3,2] row_mask:0xf bank_mask:0xf// 000000001E20: 020826FA FF00B113
	s_nop 1                                                    // 000000001E28: BF800001
	v_add_f32_dpp v4, v4, v4 quad_perm:[2,3,0,1] row_mask:0xf bank_mask:0xf// 000000001E2C: 020808FA FF004E04
	s_nop 1                                                    // 000000001E34: BF800001
	v_add_f32_dpp v4, v4, v4 row_shr:4 row_mask:0xf bank_mask:0xf// 000000001E38: 020808FA FF011404
	s_nop 1                                                    // 000000001E40: BF800001
	v_add_f32_dpp v4, v4, v4 row_shr:8 row_mask:0xf bank_mask:0xf// 000000001E44: 020808FA FF011804
	s_nop 1                                                    // 000000001E4C: BF800001
	v_add_f32_dpp v4, v4, v4 row_bcast:15 row_mask:0xf bank_mask:0xf// 000000001E50: 020808FA FF014204
	s_nop 1                                                    // 000000001E58: BF800001
	v_add_f32_dpp v4, v4, v4 row_bcast:31 row_mask:0xf bank_mask:0xf// 000000001E5C: 020808FA FF014304
	s_nop 0                                                    // 000000001E64: BF800000
	v_readlane_b32 s20, v4, 63                                 // 000000001E68: D2890014 00017F04
	v_mov_b32_e32 v20, s20                                     // 000000001E70: 7E280214
	v_rcp_f32_e32 v19, v20                                     // 000000001E74: 7E264514
	s_nop 0                                                    // 000000001E78: BF800000
	v_mul_f32_e32 v11, v11, v19                                // 000000001E7C: 0A16270B
	v_mul_f32_e32 v12, v12, v19                                // 000000001E80: 0A18270C
	v_mul_f32_e32 v13, v13, v19                                // 000000001E84: 0A1A270D
	v_mul_f32_e32 v14, v14, v19                                // 000000001E88: 0A1C270E
	v_mul_f32_e32 v15, v15, v19                                // 000000001E8C: 0A1E270F
	v_mul_f32_e32 v16, v16, v19                                // 000000001E90: 0A202710
	s_cmp_eq_u32 s66, 0                                        // 000000001E94: BF068042
	s_cbranch_scc0 label_0365                                  // 000000001E98: BF8402BE
	v_max_f32_e32 v21, v11, v12                                // 000000001E9C: 162A190B
	v_max3_f32 v21, v21, v13, v14                              // 000000001EA0: D1D30015 043A1B15
	v_max3_f32 v21, v21, v15, v16                              // 000000001EA8: D1D30015 04421F15
	s_nop 1                                                    // 000000001EB0: BF800001
	v_max_f32_dpp v4, v21, v21 quad_perm:[1,0,3,2] row_mask:0xf bank_mask:0xf// 000000001EB4: 16082AFA FF00B115
	s_nop 1                                                    // 000000001EBC: BF800001
	v_max_f32_dpp v4, v4, v4 quad_perm:[2,3,0,1] row_mask:0xf bank_mask:0xf// 000000001EC0: 160808FA FF004E04
	s_nop 1                                                    // 000000001EC8: BF800001
	v_max_f32_dpp v4, v4, v4 row_shr:4 row_mask:0xf bank_mask:0xf// 000000001ECC: 160808FA FF011404
	s_nop 1                                                    // 000000001ED4: BF800001
	v_max_f32_dpp v4, v4, v4 row_shr:8 row_mask:0xf bank_mask:0xf// 000000001ED8: 160808FA FF011804
	s_nop 1                                                    // 000000001EE0: BF800001
	v_max_f32_dpp v4, v4, v4 row_bcast:15 row_mask:0xf bank_mask:0xf// 000000001EE4: 160808FA FF014204
	s_nop 1                                                    // 000000001EEC: BF800001
	v_max_f32_dpp v4, v4, v4 row_bcast:31 row_mask:0xf bank_mask:0xf// 000000001EF0: 160808FA FF014304
	s_nop 0                                                    // 000000001EF8: BF800000
	v_readlane_b32 s20, v4, 63                                 // 000000001EFC: D2890014 00017F04
	v_mov_b32_e32 v21, s20                                     // 000000001F04: 7E2A0214
	v_cmp_eq_f32_e64 s[24:25], v21, v11                        // 000000001F08: D0420018 00021715
	v_cmp_eq_f32_e64 s[26:27], v21, v12                        // 000000001F10: D042001A 00021915
	v_cmp_eq_f32_e64 s[28:29], v21, v13                        // 000000001F18: D042001C 00021B15
	v_cmp_eq_f32_e64 s[30:31], v21, v14                        // 000000001F20: D042001E 00021D15
	v_cmp_eq_f32_e64 s[32:33], v21, v15                        // 000000001F28: D0420020 00021F15
	v_cmp_eq_f32_e64 s[34:35], v21, v16                        // 000000001F30: D0420022 00022115
	s_ff1_i32_b64 s36, s[24:25]                                // 000000001F38: BEA41118
	s_ff1_i32_b64 s37, s[26:27]                                // 000000001F3C: BEA5111A
	s_ff1_i32_b64 s38, s[28:29]                                // 000000001F40: BEA6111C
	s_ff1_i32_b64 s39, s[30:31]                                // 000000001F44: BEA7111E
	s_ff1_i32_b64 s40, s[32:33]                                // 000000001F48: BEA81120
	s_ff1_i32_b64 s41, s[34:35]                                // 000000001F4C: BEA91122
	v_readlane_b32 s20, v21, 0                                 // 000000001F50: D2890014 00010115
	v_writelane_b32 v18, s20, 0                                // 000000001F58: D28A0012 00010014
	s_mov_b32 s22, s36                                         // 000000001F60: BE960024
	s_cmp_eq_u32 s36, -1                                       // 000000001F64: BF06C124
	s_cselect_b32 s21, 1, 0                                    // 000000001F68: 85158081
	s_cbranch_scc0 label_00F6                                  // 000000001F6C: BF84001A
	s_add_u32 s48, s21, s48                                    // 000000001F70: 80303015
	s_mov_b32 s22, s37                                         // 000000001F74: BE960025
	s_cmp_eq_u32 s37, -1                                       // 000000001F78: BF06C125
	s_cselect_b32 s21, 1, 0                                    // 000000001F7C: 85158081
	s_cbranch_scc0 label_00F6                                  // 000000001F80: BF840015
	s_add_u32 s48, s21, s48                                    // 000000001F84: 80303015
	s_mov_b32 s22, s38                                         // 000000001F88: BE960026
	s_cmp_eq_u32 s38, -1                                       // 000000001F8C: BF06C126
	s_cselect_b32 s21, 1, 0                                    // 000000001F90: 85158081
	s_cbranch_scc0 label_00F6                                  // 000000001F94: BF840010
	s_add_u32 s48, s21, s48                                    // 000000001F98: 80303015
	s_mov_b32 s22, s39                                         // 000000001F9C: BE960027
	s_cmp_eq_u32 s39, -1                                       // 000000001FA0: BF06C127
	s_cselect_b32 s21, 1, 0                                    // 000000001FA4: 85158081
	s_cbranch_scc0 label_00F6                                  // 000000001FA8: BF84000B
	s_add_u32 s48, s21, s48                                    // 000000001FAC: 80303015
	s_mov_b32 s22, s40                                         // 000000001FB0: BE960028
	s_cmp_eq_u32 s40, -1                                       // 000000001FB4: BF06C128
	s_cselect_b32 s21, 1, 0                                    // 000000001FB8: 85158081
	s_cbranch_scc0 label_00F6                                  // 000000001FBC: BF840006
	s_add_u32 s48, s21, s48                                    // 000000001FC0: 80303015
	s_mov_b32 s22, s41                                         // 000000001FC4: BE960029
	s_cmp_eq_u32 s41, -1                                       // 000000001FC8: BF06C129
	s_cselect_b32 s21, 1, 0                                    // 000000001FCC: 85158081
	s_cbranch_scc0 label_00F6                                  // 000000001FD0: BF840001
	s_add_u32 s48, s21, s48                                    // 000000001FD4: 80303015

0000000000001fd8 <label_00F6>:
	s_set_gpr_idx_on s48, gpr_idx(DST)                         // 000000001FD8: BF110830
	v_writelane_b32 v11, 0, s22                                // 000000001FDC: D28A000B 00002C80
	s_set_gpr_idx_off                                          // 000000001FE4: BF9C0000
	s_mul_i32 s48, 64, s48                                     // 000000001FE8: 923030C0
	s_add_u32 s48, s22, s48                                    // 000000001FEC: 80303016
	v_writelane_b32 v17, s48, 0                                // 000000001FF0: D28A0011 00010030
	v_max_f32_e32 v21, v11, v12                                // 000000001FF8: 162A190B
	v_max3_f32 v21, v21, v13, v14                              // 000000001FFC: D1D30015 043A1B15
	v_max3_f32 v21, v21, v15, v16                              // 000000002004: D1D30015 04421F15
	s_nop 1                                                    // 00000000200C: BF800001
	v_max_f32_dpp v4, v21, v21 quad_perm:[1,0,3,2] row_mask:0xf bank_mask:0xf// 000000002010: 16082AFA FF00B115
	s_nop 1                                                    // 000000002018: BF800001
	v_max_f32_dpp v4, v4, v4 quad_perm:[2,3,0,1] row_mask:0xf bank_mask:0xf// 00000000201C: 160808FA FF004E04
	s_nop 1                                                    // 000000002024: BF800001
	v_max_f32_dpp v4, v4, v4 row_shr:4 row_mask:0xf bank_mask:0xf// 000000002028: 160808FA FF011404
	s_nop 1                                                    // 000000002030: BF800001
	v_max_f32_dpp v4, v4, v4 row_shr:8 row_mask:0xf bank_mask:0xf// 000000002034: 160808FA FF011804
	s_nop 1                                                    // 00000000203C: BF800001
	v_max_f32_dpp v4, v4, v4 row_bcast:15 row_mask:0xf bank_mask:0xf// 000000002040: 160808FA FF014204
	s_nop 1                                                    // 000000002048: BF800001
	v_max_f32_dpp v4, v4, v4 row_bcast:31 row_mask:0xf bank_mask:0xf// 00000000204C: 160808FA FF014304
	s_nop 0                                                    // 000000002054: BF800000
	v_readlane_b32 s20, v4, 63                                 // 000000002058: D2890014 00017F04
	v_mov_b32_e32 v21, s20                                     // 000000002060: 7E2A0214
	v_cmp_eq_f32_e64 s[24:25], v21, v11                        // 000000002064: D0420018 00021715
	v_cmp_eq_f32_e64 s[26:27], v21, v12                        // 00000000206C: D042001A 00021915
	v_cmp_eq_f32_e64 s[28:29], v21, v13                        // 000000002074: D042001C 00021B15
	v_cmp_eq_f32_e64 s[30:31], v21, v14                        // 00000000207C: D042001E 00021D15
	v_cmp_eq_f32_e64 s[32:33], v21, v15                        // 000000002084: D0420020 00021F15
	v_cmp_eq_f32_e64 s[34:35], v21, v16                        // 00000000208C: D0420022 00022115
	s_ff1_i32_b64 s36, s[24:25]                                // 000000002094: BEA41118
	s_ff1_i32_b64 s37, s[26:27]                                // 000000002098: BEA5111A
	s_ff1_i32_b64 s38, s[28:29]                                // 00000000209C: BEA6111C
	s_ff1_i32_b64 s39, s[30:31]                                // 0000000020A0: BEA7111E
	s_ff1_i32_b64 s40, s[32:33]                                // 0000000020A4: BEA81120
	s_ff1_i32_b64 s41, s[34:35]                                // 0000000020A8: BEA91122
	v_readlane_b32 s20, v21, 0                                 // 0000000020AC: D2890014 00010115
	v_writelane_b32 v18, s20, 1                                // 0000000020B4: D28A0012 00010214
	s_mov_b32 s22, s36                                         // 0000000020BC: BE960024
	s_cmp_eq_u32 s36, -1                                       // 0000000020C0: BF06C124
	s_cselect_b32 s21, 1, 0                                    // 0000000020C4: 85158081
	s_cbranch_scc0 label_014D                                  // 0000000020C8: BF84001A
	s_add_u32 s49, s21, s49                                    // 0000000020CC: 80313115
	s_mov_b32 s22, s37                                         // 0000000020D0: BE960025
	s_cmp_eq_u32 s37, -1                                       // 0000000020D4: BF06C125
	s_cselect_b32 s21, 1, 0                                    // 0000000020D8: 85158081
	s_cbranch_scc0 label_014D                                  // 0000000020DC: BF840015
	s_add_u32 s49, s21, s49                                    // 0000000020E0: 80313115
	s_mov_b32 s22, s38                                         // 0000000020E4: BE960026
	s_cmp_eq_u32 s38, -1                                       // 0000000020E8: BF06C126
	s_cselect_b32 s21, 1, 0                                    // 0000000020EC: 85158081
	s_cbranch_scc0 label_014D                                  // 0000000020F0: BF840010
	s_add_u32 s49, s21, s49                                    // 0000000020F4: 80313115
	s_mov_b32 s22, s39                                         // 0000000020F8: BE960027
	s_cmp_eq_u32 s39, -1                                       // 0000000020FC: BF06C127
	s_cselect_b32 s21, 1, 0                                    // 000000002100: 85158081
	s_cbranch_scc0 label_014D                                  // 000000002104: BF84000B
	s_add_u32 s49, s21, s49                                    // 000000002108: 80313115
	s_mov_b32 s22, s40                                         // 00000000210C: BE960028
	s_cmp_eq_u32 s40, -1                                       // 000000002110: BF06C128
	s_cselect_b32 s21, 1, 0                                    // 000000002114: 85158081
	s_cbranch_scc0 label_014D                                  // 000000002118: BF840006
	s_add_u32 s49, s21, s49                                    // 00000000211C: 80313115
	s_mov_b32 s22, s41                                         // 000000002120: BE960029
	s_cmp_eq_u32 s41, -1                                       // 000000002124: BF06C129
	s_cselect_b32 s21, 1, 0                                    // 000000002128: 85158081
	s_cbranch_scc0 label_014D                                  // 00000000212C: BF840001
	s_add_u32 s49, s21, s49                                    // 000000002130: 80313115

0000000000002134 <label_014D>:
	s_set_gpr_idx_on s49, gpr_idx(DST)                         // 000000002134: BF110831
	v_writelane_b32 v11, 0, s22                                // 000000002138: D28A000B 00002C80
	s_set_gpr_idx_off                                          // 000000002140: BF9C0000
	s_mul_i32 s49, 64, s49                                     // 000000002144: 923131C0
	s_add_u32 s49, s22, s49                                    // 000000002148: 80313116
	v_writelane_b32 v17, s49, 1                                // 00000000214C: D28A0011 00010231
	v_max_f32_e32 v21, v11, v12                                // 000000002154: 162A190B
	v_max3_f32 v21, v21, v13, v14                              // 000000002158: D1D30015 043A1B15
	v_max3_f32 v21, v21, v15, v16                              // 000000002160: D1D30015 04421F15
	s_nop 1                                                    // 000000002168: BF800001
	v_max_f32_dpp v4, v21, v21 quad_perm:[1,0,3,2] row_mask:0xf bank_mask:0xf// 00000000216C: 16082AFA FF00B115
	s_nop 1                                                    // 000000002174: BF800001
	v_max_f32_dpp v4, v4, v4 quad_perm:[2,3,0,1] row_mask:0xf bank_mask:0xf// 000000002178: 160808FA FF004E04
	s_nop 1                                                    // 000000002180: BF800001
	v_max_f32_dpp v4, v4, v4 row_shr:4 row_mask:0xf bank_mask:0xf// 000000002184: 160808FA FF011404
	s_nop 1                                                    // 00000000218C: BF800001
	v_max_f32_dpp v4, v4, v4 row_shr:8 row_mask:0xf bank_mask:0xf// 000000002190: 160808FA FF011804
	s_nop 1                                                    // 000000002198: BF800001
	v_max_f32_dpp v4, v4, v4 row_bcast:15 row_mask:0xf bank_mask:0xf// 00000000219C: 160808FA FF014204
	s_nop 1                                                    // 0000000021A4: BF800001
	v_max_f32_dpp v4, v4, v4 row_bcast:31 row_mask:0xf bank_mask:0xf// 0000000021A8: 160808FA FF014304
	s_nop 0                                                    // 0000000021B0: BF800000
	v_readlane_b32 s20, v4, 63                                 // 0000000021B4: D2890014 00017F04
	v_mov_b32_e32 v21, s20                                     // 0000000021BC: 7E2A0214
	v_cmp_eq_f32_e64 s[24:25], v21, v11                        // 0000000021C0: D0420018 00021715
	v_cmp_eq_f32_e64 s[26:27], v21, v12                        // 0000000021C8: D042001A 00021915
	v_cmp_eq_f32_e64 s[28:29], v21, v13                        // 0000000021D0: D042001C 00021B15
	v_cmp_eq_f32_e64 s[30:31], v21, v14                        // 0000000021D8: D042001E 00021D15
	v_cmp_eq_f32_e64 s[32:33], v21, v15                        // 0000000021E0: D0420020 00021F15
	v_cmp_eq_f32_e64 s[34:35], v21, v16                        // 0000000021E8: D0420022 00022115
	s_ff1_i32_b64 s36, s[24:25]                                // 0000000021F0: BEA41118
	s_ff1_i32_b64 s37, s[26:27]                                // 0000000021F4: BEA5111A
	s_ff1_i32_b64 s38, s[28:29]                                // 0000000021F8: BEA6111C
	s_ff1_i32_b64 s39, s[30:31]                                // 0000000021FC: BEA7111E
	s_ff1_i32_b64 s40, s[32:33]                                // 000000002200: BEA81120
	s_ff1_i32_b64 s41, s[34:35]                                // 000000002204: BEA91122
	v_readlane_b32 s20, v21, 0                                 // 000000002208: D2890014 00010115
	v_writelane_b32 v18, s20, 2                                // 000000002210: D28A0012 00010414
	s_mov_b32 s22, s36                                         // 000000002218: BE960024
	s_cmp_eq_u32 s36, -1                                       // 00000000221C: BF06C124
	s_cselect_b32 s21, 1, 0                                    // 000000002220: 85158081
	s_cbranch_scc0 label_01A4                                  // 000000002224: BF84001A
	s_add_u32 s50, s21, s50                                    // 000000002228: 80323215
	s_mov_b32 s22, s37                                         // 00000000222C: BE960025
	s_cmp_eq_u32 s37, -1                                       // 000000002230: BF06C125
	s_cselect_b32 s21, 1, 0                                    // 000000002234: 85158081
	s_cbranch_scc0 label_01A4                                  // 000000002238: BF840015
	s_add_u32 s50, s21, s50                                    // 00000000223C: 80323215
	s_mov_b32 s22, s38                                         // 000000002240: BE960026
	s_cmp_eq_u32 s38, -1                                       // 000000002244: BF06C126
	s_cselect_b32 s21, 1, 0                                    // 000000002248: 85158081
	s_cbranch_scc0 label_01A4                                  // 00000000224C: BF840010
	s_add_u32 s50, s21, s50                                    // 000000002250: 80323215
	s_mov_b32 s22, s39                                         // 000000002254: BE960027
	s_cmp_eq_u32 s39, -1                                       // 000000002258: BF06C127
	s_cselect_b32 s21, 1, 0                                    // 00000000225C: 85158081
	s_cbranch_scc0 label_01A4                                  // 000000002260: BF84000B
	s_add_u32 s50, s21, s50                                    // 000000002264: 80323215
	s_mov_b32 s22, s40                                         // 000000002268: BE960028
	s_cmp_eq_u32 s40, -1                                       // 00000000226C: BF06C128
	s_cselect_b32 s21, 1, 0                                    // 000000002270: 85158081
	s_cbranch_scc0 label_01A4                                  // 000000002274: BF840006
	s_add_u32 s50, s21, s50                                    // 000000002278: 80323215
	s_mov_b32 s22, s41                                         // 00000000227C: BE960029
	s_cmp_eq_u32 s41, -1                                       // 000000002280: BF06C129
	s_cselect_b32 s21, 1, 0                                    // 000000002284: 85158081
	s_cbranch_scc0 label_01A4                                  // 000000002288: BF840001
	s_add_u32 s50, s21, s50                                    // 00000000228C: 80323215

0000000000002290 <label_01A4>:
	s_set_gpr_idx_on s50, gpr_idx(DST)                         // 000000002290: BF110832
	v_writelane_b32 v11, 0, s22                                // 000000002294: D28A000B 00002C80
	s_set_gpr_idx_off                                          // 00000000229C: BF9C0000
	s_mul_i32 s50, 64, s50                                     // 0000000022A0: 923232C0
	s_add_u32 s50, s22, s50                                    // 0000000022A4: 80323216
	v_writelane_b32 v17, s50, 2                                // 0000000022A8: D28A0011 00010432
	v_max_f32_e32 v21, v11, v12                                // 0000000022B0: 162A190B
	v_max3_f32 v21, v21, v13, v14                              // 0000000022B4: D1D30015 043A1B15
	v_max3_f32 v21, v21, v15, v16                              // 0000000022BC: D1D30015 04421F15
	s_nop 1                                                    // 0000000022C4: BF800001
	v_max_f32_dpp v4, v21, v21 quad_perm:[1,0,3,2] row_mask:0xf bank_mask:0xf// 0000000022C8: 16082AFA FF00B115
	s_nop 1                                                    // 0000000022D0: BF800001
	v_max_f32_dpp v4, v4, v4 quad_perm:[2,3,0,1] row_mask:0xf bank_mask:0xf// 0000000022D4: 160808FA FF004E04
	s_nop 1                                                    // 0000000022DC: BF800001
	v_max_f32_dpp v4, v4, v4 row_shr:4 row_mask:0xf bank_mask:0xf// 0000000022E0: 160808FA FF011404
	s_nop 1                                                    // 0000000022E8: BF800001
	v_max_f32_dpp v4, v4, v4 row_shr:8 row_mask:0xf bank_mask:0xf// 0000000022EC: 160808FA FF011804
	s_nop 1                                                    // 0000000022F4: BF800001
	v_max_f32_dpp v4, v4, v4 row_bcast:15 row_mask:0xf bank_mask:0xf// 0000000022F8: 160808FA FF014204
	s_nop 1                                                    // 000000002300: BF800001
	v_max_f32_dpp v4, v4, v4 row_bcast:31 row_mask:0xf bank_mask:0xf// 000000002304: 160808FA FF014304
	s_nop 0                                                    // 00000000230C: BF800000
	v_readlane_b32 s20, v4, 63                                 // 000000002310: D2890014 00017F04
	v_mov_b32_e32 v21, s20                                     // 000000002318: 7E2A0214
	v_cmp_eq_f32_e64 s[24:25], v21, v11                        // 00000000231C: D0420018 00021715
	v_cmp_eq_f32_e64 s[26:27], v21, v12                        // 000000002324: D042001A 00021915
	v_cmp_eq_f32_e64 s[28:29], v21, v13                        // 00000000232C: D042001C 00021B15
	v_cmp_eq_f32_e64 s[30:31], v21, v14                        // 000000002334: D042001E 00021D15
	v_cmp_eq_f32_e64 s[32:33], v21, v15                        // 00000000233C: D0420020 00021F15
	v_cmp_eq_f32_e64 s[34:35], v21, v16                        // 000000002344: D0420022 00022115
	s_ff1_i32_b64 s36, s[24:25]                                // 00000000234C: BEA41118
	s_ff1_i32_b64 s37, s[26:27]                                // 000000002350: BEA5111A
	s_ff1_i32_b64 s38, s[28:29]                                // 000000002354: BEA6111C
	s_ff1_i32_b64 s39, s[30:31]                                // 000000002358: BEA7111E
	s_ff1_i32_b64 s40, s[32:33]                                // 00000000235C: BEA81120
	s_ff1_i32_b64 s41, s[34:35]                                // 000000002360: BEA91122
	v_readlane_b32 s20, v21, 0                                 // 000000002364: D2890014 00010115
	v_writelane_b32 v18, s20, 3                                // 00000000236C: D28A0012 00010614
	s_mov_b32 s22, s36                                         // 000000002374: BE960024
	s_cmp_eq_u32 s36, -1                                       // 000000002378: BF06C124
	s_cselect_b32 s21, 1, 0                                    // 00000000237C: 85158081
	s_cbranch_scc0 label_01FB                                  // 000000002380: BF84001A
	s_add_u32 s51, s21, s51                                    // 000000002384: 80333315
	s_mov_b32 s22, s37                                         // 000000002388: BE960025
	s_cmp_eq_u32 s37, -1                                       // 00000000238C: BF06C125
	s_cselect_b32 s21, 1, 0                                    // 000000002390: 85158081
	s_cbranch_scc0 label_01FB                                  // 000000002394: BF840015
	s_add_u32 s51, s21, s51                                    // 000000002398: 80333315
	s_mov_b32 s22, s38                                         // 00000000239C: BE960026
	s_cmp_eq_u32 s38, -1                                       // 0000000023A0: BF06C126
	s_cselect_b32 s21, 1, 0                                    // 0000000023A4: 85158081
	s_cbranch_scc0 label_01FB                                  // 0000000023A8: BF840010
	s_add_u32 s51, s21, s51                                    // 0000000023AC: 80333315
	s_mov_b32 s22, s39                                         // 0000000023B0: BE960027
	s_cmp_eq_u32 s39, -1                                       // 0000000023B4: BF06C127
	s_cselect_b32 s21, 1, 0                                    // 0000000023B8: 85158081
	s_cbranch_scc0 label_01FB                                  // 0000000023BC: BF84000B
	s_add_u32 s51, s21, s51                                    // 0000000023C0: 80333315
	s_mov_b32 s22, s40                                         // 0000000023C4: BE960028
	s_cmp_eq_u32 s40, -1                                       // 0000000023C8: BF06C128
	s_cselect_b32 s21, 1, 0                                    // 0000000023CC: 85158081
	s_cbranch_scc0 label_01FB                                  // 0000000023D0: BF840006
	s_add_u32 s51, s21, s51                                    // 0000000023D4: 80333315
	s_mov_b32 s22, s41                                         // 0000000023D8: BE960029
	s_cmp_eq_u32 s41, -1                                       // 0000000023DC: BF06C129
	s_cselect_b32 s21, 1, 0                                    // 0000000023E0: 85158081
	s_cbranch_scc0 label_01FB                                  // 0000000023E4: BF840001
	s_add_u32 s51, s21, s51                                    // 0000000023E8: 80333315

00000000000023ec <label_01FB>:
	s_set_gpr_idx_on s51, gpr_idx(DST)                         // 0000000023EC: BF110833
	v_writelane_b32 v11, 0, s22                                // 0000000023F0: D28A000B 00002C80
	s_set_gpr_idx_off                                          // 0000000023F8: BF9C0000
	s_mul_i32 s51, 64, s51                                     // 0000000023FC: 923333C0
	s_add_u32 s51, s22, s51                                    // 000000002400: 80333316
	v_writelane_b32 v17, s51, 3                                // 000000002404: D28A0011 00010633
	v_max_f32_e32 v21, v11, v12                                // 00000000240C: 162A190B
	v_max3_f32 v21, v21, v13, v14                              // 000000002410: D1D30015 043A1B15
	v_max3_f32 v21, v21, v15, v16                              // 000000002418: D1D30015 04421F15
	s_nop 1                                                    // 000000002420: BF800001
	v_max_f32_dpp v4, v21, v21 quad_perm:[1,0,3,2] row_mask:0xf bank_mask:0xf// 000000002424: 16082AFA FF00B115
	s_nop 1                                                    // 00000000242C: BF800001
	v_max_f32_dpp v4, v4, v4 quad_perm:[2,3,0,1] row_mask:0xf bank_mask:0xf// 000000002430: 160808FA FF004E04
	s_nop 1                                                    // 000000002438: BF800001
	v_max_f32_dpp v4, v4, v4 row_shr:4 row_mask:0xf bank_mask:0xf// 00000000243C: 160808FA FF011404
	s_nop 1                                                    // 000000002444: BF800001
	v_max_f32_dpp v4, v4, v4 row_shr:8 row_mask:0xf bank_mask:0xf// 000000002448: 160808FA FF011804
	s_nop 1                                                    // 000000002450: BF800001
	v_max_f32_dpp v4, v4, v4 row_bcast:15 row_mask:0xf bank_mask:0xf// 000000002454: 160808FA FF014204
	s_nop 1                                                    // 00000000245C: BF800001
	v_max_f32_dpp v4, v4, v4 row_bcast:31 row_mask:0xf bank_mask:0xf// 000000002460: 160808FA FF014304
	s_nop 0                                                    // 000000002468: BF800000
	v_readlane_b32 s20, v4, 63                                 // 00000000246C: D2890014 00017F04
	v_mov_b32_e32 v21, s20                                     // 000000002474: 7E2A0214
	v_cmp_eq_f32_e64 s[24:25], v21, v11                        // 000000002478: D0420018 00021715
	v_cmp_eq_f32_e64 s[26:27], v21, v12                        // 000000002480: D042001A 00021915
	v_cmp_eq_f32_e64 s[28:29], v21, v13                        // 000000002488: D042001C 00021B15
	v_cmp_eq_f32_e64 s[30:31], v21, v14                        // 000000002490: D042001E 00021D15
	v_cmp_eq_f32_e64 s[32:33], v21, v15                        // 000000002498: D0420020 00021F15
	v_cmp_eq_f32_e64 s[34:35], v21, v16                        // 0000000024A0: D0420022 00022115
	s_ff1_i32_b64 s36, s[24:25]                                // 0000000024A8: BEA41118
	s_ff1_i32_b64 s37, s[26:27]                                // 0000000024AC: BEA5111A
	s_ff1_i32_b64 s38, s[28:29]                                // 0000000024B0: BEA6111C
	s_ff1_i32_b64 s39, s[30:31]                                // 0000000024B4: BEA7111E
	s_ff1_i32_b64 s40, s[32:33]                                // 0000000024B8: BEA81120
	s_ff1_i32_b64 s41, s[34:35]                                // 0000000024BC: BEA91122
	v_readlane_b32 s20, v21, 0                                 // 0000000024C0: D2890014 00010115
	v_writelane_b32 v18, s20, 4                                // 0000000024C8: D28A0012 00010814
	s_mov_b32 s22, s36                                         // 0000000024D0: BE960024
	s_cmp_eq_u32 s36, -1                                       // 0000000024D4: BF06C124
	s_cselect_b32 s21, 1, 0                                    // 0000000024D8: 85158081
	s_cbranch_scc0 label_0252                                  // 0000000024DC: BF84001A
	s_add_u32 s52, s21, s52                                    // 0000000024E0: 80343415
	s_mov_b32 s22, s37                                         // 0000000024E4: BE960025
	s_cmp_eq_u32 s37, -1                                       // 0000000024E8: BF06C125
	s_cselect_b32 s21, 1, 0                                    // 0000000024EC: 85158081
	s_cbranch_scc0 label_0252                                  // 0000000024F0: BF840015
	s_add_u32 s52, s21, s52                                    // 0000000024F4: 80343415
	s_mov_b32 s22, s38                                         // 0000000024F8: BE960026
	s_cmp_eq_u32 s38, -1                                       // 0000000024FC: BF06C126
	s_cselect_b32 s21, 1, 0                                    // 000000002500: 85158081
	s_cbranch_scc0 label_0252                                  // 000000002504: BF840010
	s_add_u32 s52, s21, s52                                    // 000000002508: 80343415
	s_mov_b32 s22, s39                                         // 00000000250C: BE960027
	s_cmp_eq_u32 s39, -1                                       // 000000002510: BF06C127
	s_cselect_b32 s21, 1, 0                                    // 000000002514: 85158081
	s_cbranch_scc0 label_0252                                  // 000000002518: BF84000B
	s_add_u32 s52, s21, s52                                    // 00000000251C: 80343415
	s_mov_b32 s22, s40                                         // 000000002520: BE960028
	s_cmp_eq_u32 s40, -1                                       // 000000002524: BF06C128
	s_cselect_b32 s21, 1, 0                                    // 000000002528: 85158081
	s_cbranch_scc0 label_0252                                  // 00000000252C: BF840006
	s_add_u32 s52, s21, s52                                    // 000000002530: 80343415
	s_mov_b32 s22, s41                                         // 000000002534: BE960029
	s_cmp_eq_u32 s41, -1                                       // 000000002538: BF06C129
	s_cselect_b32 s21, 1, 0                                    // 00000000253C: 85158081
	s_cbranch_scc0 label_0252                                  // 000000002540: BF840001
	s_add_u32 s52, s21, s52                                    // 000000002544: 80343415

0000000000002548 <label_0252>:
	s_set_gpr_idx_on s52, gpr_idx(DST)                         // 000000002548: BF110834
	v_writelane_b32 v11, 0, s22                                // 00000000254C: D28A000B 00002C80
	s_set_gpr_idx_off                                          // 000000002554: BF9C0000
	s_mul_i32 s52, 64, s52                                     // 000000002558: 923434C0
	s_add_u32 s52, s22, s52                                    // 00000000255C: 80343416
	v_writelane_b32 v17, s52, 4                                // 000000002560: D28A0011 00010834
	v_max_f32_e32 v21, v11, v12                                // 000000002568: 162A190B
	v_max3_f32 v21, v21, v13, v14                              // 00000000256C: D1D30015 043A1B15
	v_max3_f32 v21, v21, v15, v16                              // 000000002574: D1D30015 04421F15
	s_nop 1                                                    // 00000000257C: BF800001
	v_max_f32_dpp v4, v21, v21 quad_perm:[1,0,3,2] row_mask:0xf bank_mask:0xf// 000000002580: 16082AFA FF00B115
	s_nop 1                                                    // 000000002588: BF800001
	v_max_f32_dpp v4, v4, v4 quad_perm:[2,3,0,1] row_mask:0xf bank_mask:0xf// 00000000258C: 160808FA FF004E04
	s_nop 1                                                    // 000000002594: BF800001
	v_max_f32_dpp v4, v4, v4 row_shr:4 row_mask:0xf bank_mask:0xf// 000000002598: 160808FA FF011404
	s_nop 1                                                    // 0000000025A0: BF800001
	v_max_f32_dpp v4, v4, v4 row_shr:8 row_mask:0xf bank_mask:0xf// 0000000025A4: 160808FA FF011804
	s_nop 1                                                    // 0000000025AC: BF800001
	v_max_f32_dpp v4, v4, v4 row_bcast:15 row_mask:0xf bank_mask:0xf// 0000000025B0: 160808FA FF014204
	s_nop 1                                                    // 0000000025B8: BF800001
	v_max_f32_dpp v4, v4, v4 row_bcast:31 row_mask:0xf bank_mask:0xf// 0000000025BC: 160808FA FF014304
	s_nop 0                                                    // 0000000025C4: BF800000
	v_readlane_b32 s20, v4, 63                                 // 0000000025C8: D2890014 00017F04
	v_mov_b32_e32 v21, s20                                     // 0000000025D0: 7E2A0214
	v_cmp_eq_f32_e64 s[24:25], v21, v11                        // 0000000025D4: D0420018 00021715
	v_cmp_eq_f32_e64 s[26:27], v21, v12                        // 0000000025DC: D042001A 00021915
	v_cmp_eq_f32_e64 s[28:29], v21, v13                        // 0000000025E4: D042001C 00021B15
	v_cmp_eq_f32_e64 s[30:31], v21, v14                        // 0000000025EC: D042001E 00021D15
	v_cmp_eq_f32_e64 s[32:33], v21, v15                        // 0000000025F4: D0420020 00021F15
	v_cmp_eq_f32_e64 s[34:35], v21, v16                        // 0000000025FC: D0420022 00022115
	s_ff1_i32_b64 s36, s[24:25]                                // 000000002604: BEA41118
	s_ff1_i32_b64 s37, s[26:27]                                // 000000002608: BEA5111A
	s_ff1_i32_b64 s38, s[28:29]                                // 00000000260C: BEA6111C
	s_ff1_i32_b64 s39, s[30:31]                                // 000000002610: BEA7111E
	s_ff1_i32_b64 s40, s[32:33]                                // 000000002614: BEA81120
	s_ff1_i32_b64 s41, s[34:35]                                // 000000002618: BEA91122
	v_readlane_b32 s20, v21, 0                                 // 00000000261C: D2890014 00010115
	v_writelane_b32 v18, s20, 5                                // 000000002624: D28A0012 00010A14
	s_mov_b32 s22, s36                                         // 00000000262C: BE960024
	s_cmp_eq_u32 s36, -1                                       // 000000002630: BF06C124
	s_cselect_b32 s21, 1, 0                                    // 000000002634: 85158081
	s_cbranch_scc0 label_02A9                                  // 000000002638: BF84001A
	s_add_u32 s53, s21, s53                                    // 00000000263C: 80353515
	s_mov_b32 s22, s37                                         // 000000002640: BE960025
	s_cmp_eq_u32 s37, -1                                       // 000000002644: BF06C125
	s_cselect_b32 s21, 1, 0                                    // 000000002648: 85158081
	s_cbranch_scc0 label_02A9                                  // 00000000264C: BF840015
	s_add_u32 s53, s21, s53                                    // 000000002650: 80353515
	s_mov_b32 s22, s38                                         // 000000002654: BE960026
	s_cmp_eq_u32 s38, -1                                       // 000000002658: BF06C126
	s_cselect_b32 s21, 1, 0                                    // 00000000265C: 85158081
	s_cbranch_scc0 label_02A9                                  // 000000002660: BF840010
	s_add_u32 s53, s21, s53                                    // 000000002664: 80353515
	s_mov_b32 s22, s39                                         // 000000002668: BE960027
	s_cmp_eq_u32 s39, -1                                       // 00000000266C: BF06C127
	s_cselect_b32 s21, 1, 0                                    // 000000002670: 85158081
	s_cbranch_scc0 label_02A9                                  // 000000002674: BF84000B
	s_add_u32 s53, s21, s53                                    // 000000002678: 80353515
	s_mov_b32 s22, s40                                         // 00000000267C: BE960028
	s_cmp_eq_u32 s40, -1                                       // 000000002680: BF06C128
	s_cselect_b32 s21, 1, 0                                    // 000000002684: 85158081
	s_cbranch_scc0 label_02A9                                  // 000000002688: BF840006
	s_add_u32 s53, s21, s53                                    // 00000000268C: 80353515
	s_mov_b32 s22, s41                                         // 000000002690: BE960029
	s_cmp_eq_u32 s41, -1                                       // 000000002694: BF06C129
	s_cselect_b32 s21, 1, 0                                    // 000000002698: 85158081
	s_cbranch_scc0 label_02A9                                  // 00000000269C: BF840001
	s_add_u32 s53, s21, s53                                    // 0000000026A0: 80353515

00000000000026a4 <label_02A9>:
	s_set_gpr_idx_on s53, gpr_idx(DST)                         // 0000000026A4: BF110835
	v_writelane_b32 v11, 0, s22                                // 0000000026A8: D28A000B 00002C80
	s_set_gpr_idx_off                                          // 0000000026B0: BF9C0000
	s_mul_i32 s53, 64, s53                                     // 0000000026B4: 923535C0
	s_add_u32 s53, s22, s53                                    // 0000000026B8: 80353516
	v_writelane_b32 v17, s53, 5                                // 0000000026BC: D28A0011 00010A35
	v_max_f32_e32 v21, v11, v12                                // 0000000026C4: 162A190B
	v_max3_f32 v21, v21, v13, v14                              // 0000000026C8: D1D30015 043A1B15
	v_max3_f32 v21, v21, v15, v16                              // 0000000026D0: D1D30015 04421F15
	s_nop 1                                                    // 0000000026D8: BF800001
	v_max_f32_dpp v4, v21, v21 quad_perm:[1,0,3,2] row_mask:0xf bank_mask:0xf// 0000000026DC: 16082AFA FF00B115
	s_nop 1                                                    // 0000000026E4: BF800001
	v_max_f32_dpp v4, v4, v4 quad_perm:[2,3,0,1] row_mask:0xf bank_mask:0xf// 0000000026E8: 160808FA FF004E04
	s_nop 1                                                    // 0000000026F0: BF800001
	v_max_f32_dpp v4, v4, v4 row_shr:4 row_mask:0xf bank_mask:0xf// 0000000026F4: 160808FA FF011404
	s_nop 1                                                    // 0000000026FC: BF800001
	v_max_f32_dpp v4, v4, v4 row_shr:8 row_mask:0xf bank_mask:0xf// 000000002700: 160808FA FF011804
	s_nop 1                                                    // 000000002708: BF800001
	v_max_f32_dpp v4, v4, v4 row_bcast:15 row_mask:0xf bank_mask:0xf// 00000000270C: 160808FA FF014204
	s_nop 1                                                    // 000000002714: BF800001
	v_max_f32_dpp v4, v4, v4 row_bcast:31 row_mask:0xf bank_mask:0xf// 000000002718: 160808FA FF014304
	s_nop 0                                                    // 000000002720: BF800000
	v_readlane_b32 s20, v4, 63                                 // 000000002724: D2890014 00017F04
	v_mov_b32_e32 v21, s20                                     // 00000000272C: 7E2A0214
	v_cmp_eq_f32_e64 s[24:25], v21, v11                        // 000000002730: D0420018 00021715
	v_cmp_eq_f32_e64 s[26:27], v21, v12                        // 000000002738: D042001A 00021915
	v_cmp_eq_f32_e64 s[28:29], v21, v13                        // 000000002740: D042001C 00021B15
	v_cmp_eq_f32_e64 s[30:31], v21, v14                        // 000000002748: D042001E 00021D15
	v_cmp_eq_f32_e64 s[32:33], v21, v15                        // 000000002750: D0420020 00021F15
	v_cmp_eq_f32_e64 s[34:35], v21, v16                        // 000000002758: D0420022 00022115
	s_ff1_i32_b64 s36, s[24:25]                                // 000000002760: BEA41118
	s_ff1_i32_b64 s37, s[26:27]                                // 000000002764: BEA5111A
	s_ff1_i32_b64 s38, s[28:29]                                // 000000002768: BEA6111C
	s_ff1_i32_b64 s39, s[30:31]                                // 00000000276C: BEA7111E
	s_ff1_i32_b64 s40, s[32:33]                                // 000000002770: BEA81120
	s_ff1_i32_b64 s41, s[34:35]                                // 000000002774: BEA91122
	v_readlane_b32 s20, v21, 0                                 // 000000002778: D2890014 00010115
	v_writelane_b32 v18, s20, 6                                // 000000002780: D28A0012 00010C14
	s_mov_b32 s22, s36                                         // 000000002788: BE960024
	s_cmp_eq_u32 s36, -1                                       // 00000000278C: BF06C124
	s_cselect_b32 s21, 1, 0                                    // 000000002790: 85158081
	s_cbranch_scc0 label_0300                                  // 000000002794: BF84001A
	s_add_u32 s54, s21, s54                                    // 000000002798: 80363615
	s_mov_b32 s22, s37                                         // 00000000279C: BE960025
	s_cmp_eq_u32 s37, -1                                       // 0000000027A0: BF06C125
	s_cselect_b32 s21, 1, 0                                    // 0000000027A4: 85158081
	s_cbranch_scc0 label_0300                                  // 0000000027A8: BF840015
	s_add_u32 s54, s21, s54                                    // 0000000027AC: 80363615
	s_mov_b32 s22, s38                                         // 0000000027B0: BE960026
	s_cmp_eq_u32 s38, -1                                       // 0000000027B4: BF06C126
	s_cselect_b32 s21, 1, 0                                    // 0000000027B8: 85158081
	s_cbranch_scc0 label_0300                                  // 0000000027BC: BF840010
	s_add_u32 s54, s21, s54                                    // 0000000027C0: 80363615
	s_mov_b32 s22, s39                                         // 0000000027C4: BE960027
	s_cmp_eq_u32 s39, -1                                       // 0000000027C8: BF06C127
	s_cselect_b32 s21, 1, 0                                    // 0000000027CC: 85158081
	s_cbranch_scc0 label_0300                                  // 0000000027D0: BF84000B
	s_add_u32 s54, s21, s54                                    // 0000000027D4: 80363615
	s_mov_b32 s22, s40                                         // 0000000027D8: BE960028
	s_cmp_eq_u32 s40, -1                                       // 0000000027DC: BF06C128
	s_cselect_b32 s21, 1, 0                                    // 0000000027E0: 85158081
	s_cbranch_scc0 label_0300                                  // 0000000027E4: BF840006
	s_add_u32 s54, s21, s54                                    // 0000000027E8: 80363615
	s_mov_b32 s22, s41                                         // 0000000027EC: BE960029
	s_cmp_eq_u32 s41, -1                                       // 0000000027F0: BF06C129
	s_cselect_b32 s21, 1, 0                                    // 0000000027F4: 85158081
	s_cbranch_scc0 label_0300                                  // 0000000027F8: BF840001
	s_add_u32 s54, s21, s54                                    // 0000000027FC: 80363615

0000000000002800 <label_0300>:
	s_set_gpr_idx_on s54, gpr_idx(DST)                         // 000000002800: BF110836
	v_writelane_b32 v11, 0, s22                                // 000000002804: D28A000B 00002C80
	s_set_gpr_idx_off                                          // 00000000280C: BF9C0000
	s_mul_i32 s54, 64, s54                                     // 000000002810: 923636C0
	s_add_u32 s54, s22, s54                                    // 000000002814: 80363616
	v_writelane_b32 v17, s54, 6                                // 000000002818: D28A0011 00010C36
	v_max_f32_e32 v21, v11, v12                                // 000000002820: 162A190B
	v_max3_f32 v21, v21, v13, v14                              // 000000002824: D1D30015 043A1B15
	v_max3_f32 v21, v21, v15, v16                              // 00000000282C: D1D30015 04421F15
	s_nop 1                                                    // 000000002834: BF800001
	v_max_f32_dpp v4, v21, v21 quad_perm:[1,0,3,2] row_mask:0xf bank_mask:0xf// 000000002838: 16082AFA FF00B115
	s_nop 1                                                    // 000000002840: BF800001
	v_max_f32_dpp v4, v4, v4 quad_perm:[2,3,0,1] row_mask:0xf bank_mask:0xf// 000000002844: 160808FA FF004E04
	s_nop 1                                                    // 00000000284C: BF800001
	v_max_f32_dpp v4, v4, v4 row_shr:4 row_mask:0xf bank_mask:0xf// 000000002850: 160808FA FF011404
	s_nop 1                                                    // 000000002858: BF800001
	v_max_f32_dpp v4, v4, v4 row_shr:8 row_mask:0xf bank_mask:0xf// 00000000285C: 160808FA FF011804
	s_nop 1                                                    // 000000002864: BF800001
	v_max_f32_dpp v4, v4, v4 row_bcast:15 row_mask:0xf bank_mask:0xf// 000000002868: 160808FA FF014204
	s_nop 1                                                    // 000000002870: BF800001
	v_max_f32_dpp v4, v4, v4 row_bcast:31 row_mask:0xf bank_mask:0xf// 000000002874: 160808FA FF014304
	s_nop 0                                                    // 00000000287C: BF800000
	v_readlane_b32 s20, v4, 63                                 // 000000002880: D2890014 00017F04
	v_mov_b32_e32 v21, s20                                     // 000000002888: 7E2A0214
	v_cmp_eq_f32_e64 s[24:25], v21, v11                        // 00000000288C: D0420018 00021715
	v_cmp_eq_f32_e64 s[26:27], v21, v12                        // 000000002894: D042001A 00021915
	v_cmp_eq_f32_e64 s[28:29], v21, v13                        // 00000000289C: D042001C 00021B15
	v_cmp_eq_f32_e64 s[30:31], v21, v14                        // 0000000028A4: D042001E 00021D15
	v_cmp_eq_f32_e64 s[32:33], v21, v15                        // 0000000028AC: D0420020 00021F15
	v_cmp_eq_f32_e64 s[34:35], v21, v16                        // 0000000028B4: D0420022 00022115
	s_ff1_i32_b64 s36, s[24:25]                                // 0000000028BC: BEA41118
	s_ff1_i32_b64 s37, s[26:27]                                // 0000000028C0: BEA5111A
	s_ff1_i32_b64 s38, s[28:29]                                // 0000000028C4: BEA6111C
	s_ff1_i32_b64 s39, s[30:31]                                // 0000000028C8: BEA7111E
	s_ff1_i32_b64 s40, s[32:33]                                // 0000000028CC: BEA81120
	s_ff1_i32_b64 s41, s[34:35]                                // 0000000028D0: BEA91122
	v_readlane_b32 s20, v21, 0                                 // 0000000028D4: D2890014 00010115
	v_writelane_b32 v18, s20, 7                                // 0000000028DC: D28A0012 00010E14
	s_mov_b32 s22, s36                                         // 0000000028E4: BE960024
	s_cmp_eq_u32 s36, -1                                       // 0000000028E8: BF06C124
	s_cselect_b32 s21, 1, 0                                    // 0000000028EC: 85158081
	s_cbranch_scc0 label_0357                                  // 0000000028F0: BF84001A
	s_add_u32 s55, s21, s55                                    // 0000000028F4: 80373715
	s_mov_b32 s22, s37                                         // 0000000028F8: BE960025
	s_cmp_eq_u32 s37, -1                                       // 0000000028FC: BF06C125
	s_cselect_b32 s21, 1, 0                                    // 000000002900: 85158081
	s_cbranch_scc0 label_0357                                  // 000000002904: BF840015
	s_add_u32 s55, s21, s55                                    // 000000002908: 80373715
	s_mov_b32 s22, s38                                         // 00000000290C: BE960026
	s_cmp_eq_u32 s38, -1                                       // 000000002910: BF06C126
	s_cselect_b32 s21, 1, 0                                    // 000000002914: 85158081
	s_cbranch_scc0 label_0357                                  // 000000002918: BF840010
	s_add_u32 s55, s21, s55                                    // 00000000291C: 80373715
	s_mov_b32 s22, s39                                         // 000000002920: BE960027
	s_cmp_eq_u32 s39, -1                                       // 000000002924: BF06C127
	s_cselect_b32 s21, 1, 0                                    // 000000002928: 85158081
	s_cbranch_scc0 label_0357                                  // 00000000292C: BF84000B
	s_add_u32 s55, s21, s55                                    // 000000002930: 80373715
	s_mov_b32 s22, s40                                         // 000000002934: BE960028
	s_cmp_eq_u32 s40, -1                                       // 000000002938: BF06C128
	s_cselect_b32 s21, 1, 0                                    // 00000000293C: 85158081
	s_cbranch_scc0 label_0357                                  // 000000002940: BF840006
	s_add_u32 s55, s21, s55                                    // 000000002944: 80373715
	s_mov_b32 s22, s41                                         // 000000002948: BE960029
	s_cmp_eq_u32 s41, -1                                       // 00000000294C: BF06C129
	s_cselect_b32 s21, 1, 0                                    // 000000002950: 85158081
	s_cbranch_scc0 label_0357                                  // 000000002954: BF840001
	s_add_u32 s55, s21, s55                                    // 000000002958: 80373715

000000000000295c <label_0357>:
	s_set_gpr_idx_on s55, gpr_idx(DST)                         // 00000000295C: BF110837
	v_writelane_b32 v11, 0, s22                                // 000000002960: D28A000B 00002C80
	s_set_gpr_idx_off                                          // 000000002968: BF9C0000
	s_mul_i32 s55, 64, s55                                     // 00000000296C: 923737C0
	s_add_u32 s55, s22, s55                                    // 000000002970: 80373716
	v_writelane_b32 v17, s55, 7                                // 000000002974: D28A0011 00010E37
	s_bfm_b64 exec, s18, 0                                     // 00000000297C: 91FE8012
	buffer_store_dword v17, v9, s[4:7], 0 offen                // 000000002980: E0701000 80011109
	buffer_store_dword v18, v10, s[8:11], 0 offen              // 000000002988: E0701000 8002120A
	s_branch label_062D                                        // 000000002990: BF8202C8

0000000000002994 <label_0365>:
	v_max_f32_e32 v21, v11, v12                                // 000000002994: 162A190B
	v_max3_f32 v21, v21, v13, v14                              // 000000002998: D1D30015 043A1B15
	v_max3_f32 v21, v21, v15, v16                              // 0000000029A0: D1D30015 04421F15
	s_nop 1                                                    // 0000000029A8: BF800001
	v_max_f32_dpp v4, v21, v21 quad_perm:[1,0,3,2] row_mask:0xf bank_mask:0xf// 0000000029AC: 16082AFA FF00B115
	s_nop 1                                                    // 0000000029B4: BF800001
	v_max_f32_dpp v4, v4, v4 quad_perm:[2,3,0,1] row_mask:0xf bank_mask:0xf// 0000000029B8: 160808FA FF004E04
	s_nop 1                                                    // 0000000029C0: BF800001
	v_max_f32_dpp v4, v4, v4 row_shr:4 row_mask:0xf bank_mask:0xf// 0000000029C4: 160808FA FF011404
	s_nop 1                                                    // 0000000029CC: BF800001
	v_max_f32_dpp v4, v4, v4 row_shr:8 row_mask:0xf bank_mask:0xf// 0000000029D0: 160808FA FF011804
	s_nop 1                                                    // 0000000029D8: BF800001
	v_max_f32_dpp v4, v4, v4 row_bcast:15 row_mask:0xf bank_mask:0xf// 0000000029DC: 160808FA FF014204
	s_nop 1                                                    // 0000000029E4: BF800001
	v_max_f32_dpp v4, v4, v4 row_bcast:31 row_mask:0xf bank_mask:0xf// 0000000029E8: 160808FA FF014304
	s_nop 0                                                    // 0000000029F0: BF800000
	v_readlane_b32 s20, v4, 63                                 // 0000000029F4: D2890014 00017F04
	v_mov_b32_e32 v21, s20                                     // 0000000029FC: 7E2A0214
	v_add_f32_e32 v23, v23, v21                                // 000000002A00: 022E2B17
	v_cmp_eq_f32_e64 s[24:25], v21, v11                        // 000000002A04: D0420018 00021715
	v_cmp_eq_f32_e64 s[26:27], v21, v12                        // 000000002A0C: D042001A 00021915
	v_cmp_eq_f32_e64 s[28:29], v21, v13                        // 000000002A14: D042001C 00021B15
	v_cmp_eq_f32_e64 s[30:31], v21, v14                        // 000000002A1C: D042001E 00021D15
	v_cmp_eq_f32_e64 s[32:33], v21, v15                        // 000000002A24: D0420020 00021F15
	v_cmp_eq_f32_e64 s[34:35], v21, v16                        // 000000002A2C: D0420022 00022115
	s_ff1_i32_b64 s36, s[24:25]                                // 000000002A34: BEA41118
	s_ff1_i32_b64 s37, s[26:27]                                // 000000002A38: BEA5111A
	s_ff1_i32_b64 s38, s[28:29]                                // 000000002A3C: BEA6111C
	s_ff1_i32_b64 s39, s[30:31]                                // 000000002A40: BEA7111E
	s_ff1_i32_b64 s40, s[32:33]                                // 000000002A44: BEA81120
	s_ff1_i32_b64 s41, s[34:35]                                // 000000002A48: BEA91122
	v_readlane_b32 s20, v21, 0                                 // 000000002A4C: D2890014 00010115
	v_writelane_b32 v18, s20, 0                                // 000000002A54: D28A0012 00010014
	s_mov_b32 s22, s36                                         // 000000002A5C: BE960024
	s_cmp_eq_u32 s36, -1                                       // 000000002A60: BF06C124
	s_cselect_b32 s21, 1, 0                                    // 000000002A64: 85158081
	s_cbranch_scc0 label_03B5                                  // 000000002A68: BF84001A
	s_add_u32 s48, s21, s48                                    // 000000002A6C: 80303015
	s_mov_b32 s22, s37                                         // 000000002A70: BE960025
	s_cmp_eq_u32 s37, -1                                       // 000000002A74: BF06C125
	s_cselect_b32 s21, 1, 0                                    // 000000002A78: 85158081
	s_cbranch_scc0 label_03B5                                  // 000000002A7C: BF840015
	s_add_u32 s48, s21, s48                                    // 000000002A80: 80303015
	s_mov_b32 s22, s38                                         // 000000002A84: BE960026
	s_cmp_eq_u32 s38, -1                                       // 000000002A88: BF06C126
	s_cselect_b32 s21, 1, 0                                    // 000000002A8C: 85158081
	s_cbranch_scc0 label_03B5                                  // 000000002A90: BF840010
	s_add_u32 s48, s21, s48                                    // 000000002A94: 80303015
	s_mov_b32 s22, s39                                         // 000000002A98: BE960027
	s_cmp_eq_u32 s39, -1                                       // 000000002A9C: BF06C127
	s_cselect_b32 s21, 1, 0                                    // 000000002AA0: 85158081
	s_cbranch_scc0 label_03B5                                  // 000000002AA4: BF84000B
	s_add_u32 s48, s21, s48                                    // 000000002AA8: 80303015
	s_mov_b32 s22, s40                                         // 000000002AAC: BE960028
	s_cmp_eq_u32 s40, -1                                       // 000000002AB0: BF06C128
	s_cselect_b32 s21, 1, 0                                    // 000000002AB4: 85158081
	s_cbranch_scc0 label_03B5                                  // 000000002AB8: BF840006
	s_add_u32 s48, s21, s48                                    // 000000002ABC: 80303015
	s_mov_b32 s22, s41                                         // 000000002AC0: BE960029
	s_cmp_eq_u32 s41, -1                                       // 000000002AC4: BF06C129
	s_cselect_b32 s21, 1, 0                                    // 000000002AC8: 85158081
	s_cbranch_scc0 label_03B5                                  // 000000002ACC: BF840001
	s_add_u32 s48, s21, s48                                    // 000000002AD0: 80303015

0000000000002ad4 <label_03B5>:
	s_set_gpr_idx_on s48, gpr_idx(DST)                         // 000000002AD4: BF110830
	v_writelane_b32 v11, 0, s22                                // 000000002AD8: D28A000B 00002C80
	s_set_gpr_idx_off                                          // 000000002AE0: BF9C0000
	s_mul_i32 s48, 64, s48                                     // 000000002AE4: 923030C0
	s_add_u32 s48, s22, s48                                    // 000000002AE8: 80303016
	v_writelane_b32 v17, s48, 0                                // 000000002AEC: D28A0011 00010030
	v_max_f32_e32 v21, v11, v12                                // 000000002AF4: 162A190B
	v_max3_f32 v21, v21, v13, v14                              // 000000002AF8: D1D30015 043A1B15
	v_max3_f32 v21, v21, v15, v16                              // 000000002B00: D1D30015 04421F15
	s_nop 1                                                    // 000000002B08: BF800001
	v_max_f32_dpp v4, v21, v21 quad_perm:[1,0,3,2] row_mask:0xf bank_mask:0xf// 000000002B0C: 16082AFA FF00B115
	s_nop 1                                                    // 000000002B14: BF800001
	v_max_f32_dpp v4, v4, v4 quad_perm:[2,3,0,1] row_mask:0xf bank_mask:0xf// 000000002B18: 160808FA FF004E04
	s_nop 1                                                    // 000000002B20: BF800001
	v_max_f32_dpp v4, v4, v4 row_shr:4 row_mask:0xf bank_mask:0xf// 000000002B24: 160808FA FF011404
	s_nop 1                                                    // 000000002B2C: BF800001
	v_max_f32_dpp v4, v4, v4 row_shr:8 row_mask:0xf bank_mask:0xf// 000000002B30: 160808FA FF011804
	s_nop 1                                                    // 000000002B38: BF800001
	v_max_f32_dpp v4, v4, v4 row_bcast:15 row_mask:0xf bank_mask:0xf// 000000002B3C: 160808FA FF014204
	s_nop 1                                                    // 000000002B44: BF800001
	v_max_f32_dpp v4, v4, v4 row_bcast:31 row_mask:0xf bank_mask:0xf// 000000002B48: 160808FA FF014304
	s_nop 0                                                    // 000000002B50: BF800000
	v_readlane_b32 s20, v4, 63                                 // 000000002B54: D2890014 00017F04
	v_mov_b32_e32 v21, s20                                     // 000000002B5C: 7E2A0214
	v_add_f32_e32 v23, v23, v21                                // 000000002B60: 022E2B17
	v_cmp_eq_f32_e64 s[24:25], v21, v11                        // 000000002B64: D0420018 00021715
	v_cmp_eq_f32_e64 s[26:27], v21, v12                        // 000000002B6C: D042001A 00021915
	v_cmp_eq_f32_e64 s[28:29], v21, v13                        // 000000002B74: D042001C 00021B15
	v_cmp_eq_f32_e64 s[30:31], v21, v14                        // 000000002B7C: D042001E 00021D15
	v_cmp_eq_f32_e64 s[32:33], v21, v15                        // 000000002B84: D0420020 00021F15
	v_cmp_eq_f32_e64 s[34:35], v21, v16                        // 000000002B8C: D0420022 00022115
	s_ff1_i32_b64 s36, s[24:25]                                // 000000002B94: BEA41118
	s_ff1_i32_b64 s37, s[26:27]                                // 000000002B98: BEA5111A
	s_ff1_i32_b64 s38, s[28:29]                                // 000000002B9C: BEA6111C
	s_ff1_i32_b64 s39, s[30:31]                                // 000000002BA0: BEA7111E
	s_ff1_i32_b64 s40, s[32:33]                                // 000000002BA4: BEA81120
	s_ff1_i32_b64 s41, s[34:35]                                // 000000002BA8: BEA91122
	v_readlane_b32 s20, v21, 0                                 // 000000002BAC: D2890014 00010115
	v_writelane_b32 v18, s20, 1                                // 000000002BB4: D28A0012 00010214
	s_mov_b32 s22, s36                                         // 000000002BBC: BE960024
	s_cmp_eq_u32 s36, -1                                       // 000000002BC0: BF06C124
	s_cselect_b32 s21, 1, 0                                    // 000000002BC4: 85158081
	s_cbranch_scc0 label_040D                                  // 000000002BC8: BF84001A
	s_add_u32 s49, s21, s49                                    // 000000002BCC: 80313115
	s_mov_b32 s22, s37                                         // 000000002BD0: BE960025
	s_cmp_eq_u32 s37, -1                                       // 000000002BD4: BF06C125
	s_cselect_b32 s21, 1, 0                                    // 000000002BD8: 85158081
	s_cbranch_scc0 label_040D                                  // 000000002BDC: BF840015
	s_add_u32 s49, s21, s49                                    // 000000002BE0: 80313115
	s_mov_b32 s22, s38                                         // 000000002BE4: BE960026
	s_cmp_eq_u32 s38, -1                                       // 000000002BE8: BF06C126
	s_cselect_b32 s21, 1, 0                                    // 000000002BEC: 85158081
	s_cbranch_scc0 label_040D                                  // 000000002BF0: BF840010
	s_add_u32 s49, s21, s49                                    // 000000002BF4: 80313115
	s_mov_b32 s22, s39                                         // 000000002BF8: BE960027
	s_cmp_eq_u32 s39, -1                                       // 000000002BFC: BF06C127
	s_cselect_b32 s21, 1, 0                                    // 000000002C00: 85158081
	s_cbranch_scc0 label_040D                                  // 000000002C04: BF84000B
	s_add_u32 s49, s21, s49                                    // 000000002C08: 80313115
	s_mov_b32 s22, s40                                         // 000000002C0C: BE960028
	s_cmp_eq_u32 s40, -1                                       // 000000002C10: BF06C128
	s_cselect_b32 s21, 1, 0                                    // 000000002C14: 85158081
	s_cbranch_scc0 label_040D                                  // 000000002C18: BF840006
	s_add_u32 s49, s21, s49                                    // 000000002C1C: 80313115
	s_mov_b32 s22, s41                                         // 000000002C20: BE960029
	s_cmp_eq_u32 s41, -1                                       // 000000002C24: BF06C129
	s_cselect_b32 s21, 1, 0                                    // 000000002C28: 85158081
	s_cbranch_scc0 label_040D                                  // 000000002C2C: BF840001
	s_add_u32 s49, s21, s49                                    // 000000002C30: 80313115

0000000000002c34 <label_040D>:
	s_set_gpr_idx_on s49, gpr_idx(DST)                         // 000000002C34: BF110831
	v_writelane_b32 v11, 0, s22                                // 000000002C38: D28A000B 00002C80
	s_set_gpr_idx_off                                          // 000000002C40: BF9C0000
	s_mul_i32 s49, 64, s49                                     // 000000002C44: 923131C0
	s_add_u32 s49, s22, s49                                    // 000000002C48: 80313116
	v_writelane_b32 v17, s49, 1                                // 000000002C4C: D28A0011 00010231
	v_max_f32_e32 v21, v11, v12                                // 000000002C54: 162A190B
	v_max3_f32 v21, v21, v13, v14                              // 000000002C58: D1D30015 043A1B15
	v_max3_f32 v21, v21, v15, v16                              // 000000002C60: D1D30015 04421F15
	s_nop 1                                                    // 000000002C68: BF800001
	v_max_f32_dpp v4, v21, v21 quad_perm:[1,0,3,2] row_mask:0xf bank_mask:0xf// 000000002C6C: 16082AFA FF00B115
	s_nop 1                                                    // 000000002C74: BF800001
	v_max_f32_dpp v4, v4, v4 quad_perm:[2,3,0,1] row_mask:0xf bank_mask:0xf// 000000002C78: 160808FA FF004E04
	s_nop 1                                                    // 000000002C80: BF800001
	v_max_f32_dpp v4, v4, v4 row_shr:4 row_mask:0xf bank_mask:0xf// 000000002C84: 160808FA FF011404
	s_nop 1                                                    // 000000002C8C: BF800001
	v_max_f32_dpp v4, v4, v4 row_shr:8 row_mask:0xf bank_mask:0xf// 000000002C90: 160808FA FF011804
	s_nop 1                                                    // 000000002C98: BF800001
	v_max_f32_dpp v4, v4, v4 row_bcast:15 row_mask:0xf bank_mask:0xf// 000000002C9C: 160808FA FF014204
	s_nop 1                                                    // 000000002CA4: BF800001
	v_max_f32_dpp v4, v4, v4 row_bcast:31 row_mask:0xf bank_mask:0xf// 000000002CA8: 160808FA FF014304
	s_nop 0                                                    // 000000002CB0: BF800000
	v_readlane_b32 s20, v4, 63                                 // 000000002CB4: D2890014 00017F04
	v_mov_b32_e32 v21, s20                                     // 000000002CBC: 7E2A0214
	v_add_f32_e32 v23, v23, v21                                // 000000002CC0: 022E2B17
	v_cmp_eq_f32_e64 s[24:25], v21, v11                        // 000000002CC4: D0420018 00021715
	v_cmp_eq_f32_e64 s[26:27], v21, v12                        // 000000002CCC: D042001A 00021915
	v_cmp_eq_f32_e64 s[28:29], v21, v13                        // 000000002CD4: D042001C 00021B15
	v_cmp_eq_f32_e64 s[30:31], v21, v14                        // 000000002CDC: D042001E 00021D15
	v_cmp_eq_f32_e64 s[32:33], v21, v15                        // 000000002CE4: D0420020 00021F15
	v_cmp_eq_f32_e64 s[34:35], v21, v16                        // 000000002CEC: D0420022 00022115
	s_ff1_i32_b64 s36, s[24:25]                                // 000000002CF4: BEA41118
	s_ff1_i32_b64 s37, s[26:27]                                // 000000002CF8: BEA5111A
	s_ff1_i32_b64 s38, s[28:29]                                // 000000002CFC: BEA6111C
	s_ff1_i32_b64 s39, s[30:31]                                // 000000002D00: BEA7111E
	s_ff1_i32_b64 s40, s[32:33]                                // 000000002D04: BEA81120
	s_ff1_i32_b64 s41, s[34:35]                                // 000000002D08: BEA91122
	v_readlane_b32 s20, v21, 0                                 // 000000002D0C: D2890014 00010115
	v_writelane_b32 v18, s20, 2                                // 000000002D14: D28A0012 00010414
	s_mov_b32 s22, s36                                         // 000000002D1C: BE960024
	s_cmp_eq_u32 s36, -1                                       // 000000002D20: BF06C124
	s_cselect_b32 s21, 1, 0                                    // 000000002D24: 85158081
	s_cbranch_scc0 label_0465                                  // 000000002D28: BF84001A
	s_add_u32 s50, s21, s50                                    // 000000002D2C: 80323215
	s_mov_b32 s22, s37                                         // 000000002D30: BE960025
	s_cmp_eq_u32 s37, -1                                       // 000000002D34: BF06C125
	s_cselect_b32 s21, 1, 0                                    // 000000002D38: 85158081
	s_cbranch_scc0 label_0465                                  // 000000002D3C: BF840015
	s_add_u32 s50, s21, s50                                    // 000000002D40: 80323215
	s_mov_b32 s22, s38                                         // 000000002D44: BE960026
	s_cmp_eq_u32 s38, -1                                       // 000000002D48: BF06C126
	s_cselect_b32 s21, 1, 0                                    // 000000002D4C: 85158081
	s_cbranch_scc0 label_0465                                  // 000000002D50: BF840010
	s_add_u32 s50, s21, s50                                    // 000000002D54: 80323215
	s_mov_b32 s22, s39                                         // 000000002D58: BE960027
	s_cmp_eq_u32 s39, -1                                       // 000000002D5C: BF06C127
	s_cselect_b32 s21, 1, 0                                    // 000000002D60: 85158081
	s_cbranch_scc0 label_0465                                  // 000000002D64: BF84000B
	s_add_u32 s50, s21, s50                                    // 000000002D68: 80323215
	s_mov_b32 s22, s40                                         // 000000002D6C: BE960028
	s_cmp_eq_u32 s40, -1                                       // 000000002D70: BF06C128
	s_cselect_b32 s21, 1, 0                                    // 000000002D74: 85158081
	s_cbranch_scc0 label_0465                                  // 000000002D78: BF840006
	s_add_u32 s50, s21, s50                                    // 000000002D7C: 80323215
	s_mov_b32 s22, s41                                         // 000000002D80: BE960029
	s_cmp_eq_u32 s41, -1                                       // 000000002D84: BF06C129
	s_cselect_b32 s21, 1, 0                                    // 000000002D88: 85158081
	s_cbranch_scc0 label_0465                                  // 000000002D8C: BF840001
	s_add_u32 s50, s21, s50                                    // 000000002D90: 80323215

0000000000002d94 <label_0465>:
	s_set_gpr_idx_on s50, gpr_idx(DST)                         // 000000002D94: BF110832
	v_writelane_b32 v11, 0, s22                                // 000000002D98: D28A000B 00002C80
	s_set_gpr_idx_off                                          // 000000002DA0: BF9C0000
	s_mul_i32 s50, 64, s50                                     // 000000002DA4: 923232C0
	s_add_u32 s50, s22, s50                                    // 000000002DA8: 80323216
	v_writelane_b32 v17, s50, 2                                // 000000002DAC: D28A0011 00010432
	v_max_f32_e32 v21, v11, v12                                // 000000002DB4: 162A190B
	v_max3_f32 v21, v21, v13, v14                              // 000000002DB8: D1D30015 043A1B15
	v_max3_f32 v21, v21, v15, v16                              // 000000002DC0: D1D30015 04421F15
	s_nop 1                                                    // 000000002DC8: BF800001
	v_max_f32_dpp v4, v21, v21 quad_perm:[1,0,3,2] row_mask:0xf bank_mask:0xf// 000000002DCC: 16082AFA FF00B115
	s_nop 1                                                    // 000000002DD4: BF800001
	v_max_f32_dpp v4, v4, v4 quad_perm:[2,3,0,1] row_mask:0xf bank_mask:0xf// 000000002DD8: 160808FA FF004E04
	s_nop 1                                                    // 000000002DE0: BF800001
	v_max_f32_dpp v4, v4, v4 row_shr:4 row_mask:0xf bank_mask:0xf// 000000002DE4: 160808FA FF011404
	s_nop 1                                                    // 000000002DEC: BF800001
	v_max_f32_dpp v4, v4, v4 row_shr:8 row_mask:0xf bank_mask:0xf// 000000002DF0: 160808FA FF011804
	s_nop 1                                                    // 000000002DF8: BF800001
	v_max_f32_dpp v4, v4, v4 row_bcast:15 row_mask:0xf bank_mask:0xf// 000000002DFC: 160808FA FF014204
	s_nop 1                                                    // 000000002E04: BF800001
	v_max_f32_dpp v4, v4, v4 row_bcast:31 row_mask:0xf bank_mask:0xf// 000000002E08: 160808FA FF014304
	s_nop 0                                                    // 000000002E10: BF800000
	v_readlane_b32 s20, v4, 63                                 // 000000002E14: D2890014 00017F04
	v_mov_b32_e32 v21, s20                                     // 000000002E1C: 7E2A0214
	v_add_f32_e32 v23, v23, v21                                // 000000002E20: 022E2B17
	v_cmp_eq_f32_e64 s[24:25], v21, v11                        // 000000002E24: D0420018 00021715
	v_cmp_eq_f32_e64 s[26:27], v21, v12                        // 000000002E2C: D042001A 00021915
	v_cmp_eq_f32_e64 s[28:29], v21, v13                        // 000000002E34: D042001C 00021B15
	v_cmp_eq_f32_e64 s[30:31], v21, v14                        // 000000002E3C: D042001E 00021D15
	v_cmp_eq_f32_e64 s[32:33], v21, v15                        // 000000002E44: D0420020 00021F15
	v_cmp_eq_f32_e64 s[34:35], v21, v16                        // 000000002E4C: D0420022 00022115
	s_ff1_i32_b64 s36, s[24:25]                                // 000000002E54: BEA41118
	s_ff1_i32_b64 s37, s[26:27]                                // 000000002E58: BEA5111A
	s_ff1_i32_b64 s38, s[28:29]                                // 000000002E5C: BEA6111C
	s_ff1_i32_b64 s39, s[30:31]                                // 000000002E60: BEA7111E
	s_ff1_i32_b64 s40, s[32:33]                                // 000000002E64: BEA81120
	s_ff1_i32_b64 s41, s[34:35]                                // 000000002E68: BEA91122
	v_readlane_b32 s20, v21, 0                                 // 000000002E6C: D2890014 00010115
	v_writelane_b32 v18, s20, 3                                // 000000002E74: D28A0012 00010614
	s_mov_b32 s22, s36                                         // 000000002E7C: BE960024
	s_cmp_eq_u32 s36, -1                                       // 000000002E80: BF06C124
	s_cselect_b32 s21, 1, 0                                    // 000000002E84: 85158081
	s_cbranch_scc0 label_04BD                                  // 000000002E88: BF84001A
	s_add_u32 s51, s21, s51                                    // 000000002E8C: 80333315
	s_mov_b32 s22, s37                                         // 000000002E90: BE960025
	s_cmp_eq_u32 s37, -1                                       // 000000002E94: BF06C125
	s_cselect_b32 s21, 1, 0                                    // 000000002E98: 85158081
	s_cbranch_scc0 label_04BD                                  // 000000002E9C: BF840015
	s_add_u32 s51, s21, s51                                    // 000000002EA0: 80333315
	s_mov_b32 s22, s38                                         // 000000002EA4: BE960026
	s_cmp_eq_u32 s38, -1                                       // 000000002EA8: BF06C126
	s_cselect_b32 s21, 1, 0                                    // 000000002EAC: 85158081
	s_cbranch_scc0 label_04BD                                  // 000000002EB0: BF840010
	s_add_u32 s51, s21, s51                                    // 000000002EB4: 80333315
	s_mov_b32 s22, s39                                         // 000000002EB8: BE960027
	s_cmp_eq_u32 s39, -1                                       // 000000002EBC: BF06C127
	s_cselect_b32 s21, 1, 0                                    // 000000002EC0: 85158081
	s_cbranch_scc0 label_04BD                                  // 000000002EC4: BF84000B
	s_add_u32 s51, s21, s51                                    // 000000002EC8: 80333315
	s_mov_b32 s22, s40                                         // 000000002ECC: BE960028
	s_cmp_eq_u32 s40, -1                                       // 000000002ED0: BF06C128
	s_cselect_b32 s21, 1, 0                                    // 000000002ED4: 85158081
	s_cbranch_scc0 label_04BD                                  // 000000002ED8: BF840006
	s_add_u32 s51, s21, s51                                    // 000000002EDC: 80333315
	s_mov_b32 s22, s41                                         // 000000002EE0: BE960029
	s_cmp_eq_u32 s41, -1                                       // 000000002EE4: BF06C129
	s_cselect_b32 s21, 1, 0                                    // 000000002EE8: 85158081
	s_cbranch_scc0 label_04BD                                  // 000000002EEC: BF840001
	s_add_u32 s51, s21, s51                                    // 000000002EF0: 80333315

0000000000002ef4 <label_04BD>:
	s_set_gpr_idx_on s51, gpr_idx(DST)                         // 000000002EF4: BF110833
	v_writelane_b32 v11, 0, s22                                // 000000002EF8: D28A000B 00002C80
	s_set_gpr_idx_off                                          // 000000002F00: BF9C0000
	s_mul_i32 s51, 64, s51                                     // 000000002F04: 923333C0
	s_add_u32 s51, s22, s51                                    // 000000002F08: 80333316
	v_writelane_b32 v17, s51, 3                                // 000000002F0C: D28A0011 00010633
	v_max_f32_e32 v21, v11, v12                                // 000000002F14: 162A190B
	v_max3_f32 v21, v21, v13, v14                              // 000000002F18: D1D30015 043A1B15
	v_max3_f32 v21, v21, v15, v16                              // 000000002F20: D1D30015 04421F15
	s_nop 1                                                    // 000000002F28: BF800001
	v_max_f32_dpp v4, v21, v21 quad_perm:[1,0,3,2] row_mask:0xf bank_mask:0xf// 000000002F2C: 16082AFA FF00B115
	s_nop 1                                                    // 000000002F34: BF800001
	v_max_f32_dpp v4, v4, v4 quad_perm:[2,3,0,1] row_mask:0xf bank_mask:0xf// 000000002F38: 160808FA FF004E04
	s_nop 1                                                    // 000000002F40: BF800001
	v_max_f32_dpp v4, v4, v4 row_shr:4 row_mask:0xf bank_mask:0xf// 000000002F44: 160808FA FF011404
	s_nop 1                                                    // 000000002F4C: BF800001
	v_max_f32_dpp v4, v4, v4 row_shr:8 row_mask:0xf bank_mask:0xf// 000000002F50: 160808FA FF011804
	s_nop 1                                                    // 000000002F58: BF800001
	v_max_f32_dpp v4, v4, v4 row_bcast:15 row_mask:0xf bank_mask:0xf// 000000002F5C: 160808FA FF014204
	s_nop 1                                                    // 000000002F64: BF800001
	v_max_f32_dpp v4, v4, v4 row_bcast:31 row_mask:0xf bank_mask:0xf// 000000002F68: 160808FA FF014304
	s_nop 0                                                    // 000000002F70: BF800000
	v_readlane_b32 s20, v4, 63                                 // 000000002F74: D2890014 00017F04
	v_mov_b32_e32 v21, s20                                     // 000000002F7C: 7E2A0214
	v_add_f32_e32 v23, v23, v21                                // 000000002F80: 022E2B17
	v_cmp_eq_f32_e64 s[24:25], v21, v11                        // 000000002F84: D0420018 00021715
	v_cmp_eq_f32_e64 s[26:27], v21, v12                        // 000000002F8C: D042001A 00021915
	v_cmp_eq_f32_e64 s[28:29], v21, v13                        // 000000002F94: D042001C 00021B15
	v_cmp_eq_f32_e64 s[30:31], v21, v14                        // 000000002F9C: D042001E 00021D15
	v_cmp_eq_f32_e64 s[32:33], v21, v15                        // 000000002FA4: D0420020 00021F15
	v_cmp_eq_f32_e64 s[34:35], v21, v16                        // 000000002FAC: D0420022 00022115
	s_ff1_i32_b64 s36, s[24:25]                                // 000000002FB4: BEA41118
	s_ff1_i32_b64 s37, s[26:27]                                // 000000002FB8: BEA5111A
	s_ff1_i32_b64 s38, s[28:29]                                // 000000002FBC: BEA6111C
	s_ff1_i32_b64 s39, s[30:31]                                // 000000002FC0: BEA7111E
	s_ff1_i32_b64 s40, s[32:33]                                // 000000002FC4: BEA81120
	s_ff1_i32_b64 s41, s[34:35]                                // 000000002FC8: BEA91122
	v_readlane_b32 s20, v21, 0                                 // 000000002FCC: D2890014 00010115
	v_writelane_b32 v18, s20, 4                                // 000000002FD4: D28A0012 00010814
	s_mov_b32 s22, s36                                         // 000000002FDC: BE960024
	s_cmp_eq_u32 s36, -1                                       // 000000002FE0: BF06C124
	s_cselect_b32 s21, 1, 0                                    // 000000002FE4: 85158081
	s_cbranch_scc0 label_0515                                  // 000000002FE8: BF84001A
	s_add_u32 s52, s21, s52                                    // 000000002FEC: 80343415
	s_mov_b32 s22, s37                                         // 000000002FF0: BE960025
	s_cmp_eq_u32 s37, -1                                       // 000000002FF4: BF06C125
	s_cselect_b32 s21, 1, 0                                    // 000000002FF8: 85158081
	s_cbranch_scc0 label_0515                                  // 000000002FFC: BF840015
	s_add_u32 s52, s21, s52                                    // 000000003000: 80343415
	s_mov_b32 s22, s38                                         // 000000003004: BE960026
	s_cmp_eq_u32 s38, -1                                       // 000000003008: BF06C126
	s_cselect_b32 s21, 1, 0                                    // 00000000300C: 85158081
	s_cbranch_scc0 label_0515                                  // 000000003010: BF840010
	s_add_u32 s52, s21, s52                                    // 000000003014: 80343415
	s_mov_b32 s22, s39                                         // 000000003018: BE960027
	s_cmp_eq_u32 s39, -1                                       // 00000000301C: BF06C127
	s_cselect_b32 s21, 1, 0                                    // 000000003020: 85158081
	s_cbranch_scc0 label_0515                                  // 000000003024: BF84000B
	s_add_u32 s52, s21, s52                                    // 000000003028: 80343415
	s_mov_b32 s22, s40                                         // 00000000302C: BE960028
	s_cmp_eq_u32 s40, -1                                       // 000000003030: BF06C128
	s_cselect_b32 s21, 1, 0                                    // 000000003034: 85158081
	s_cbranch_scc0 label_0515                                  // 000000003038: BF840006
	s_add_u32 s52, s21, s52                                    // 00000000303C: 80343415
	s_mov_b32 s22, s41                                         // 000000003040: BE960029
	s_cmp_eq_u32 s41, -1                                       // 000000003044: BF06C129
	s_cselect_b32 s21, 1, 0                                    // 000000003048: 85158081
	s_cbranch_scc0 label_0515                                  // 00000000304C: BF840001
	s_add_u32 s52, s21, s52                                    // 000000003050: 80343415

0000000000003054 <label_0515>:
	s_set_gpr_idx_on s52, gpr_idx(DST)                         // 000000003054: BF110834
	v_writelane_b32 v11, 0, s22                                // 000000003058: D28A000B 00002C80
	s_set_gpr_idx_off                                          // 000000003060: BF9C0000
	s_mul_i32 s52, 64, s52                                     // 000000003064: 923434C0
	s_add_u32 s52, s22, s52                                    // 000000003068: 80343416
	v_writelane_b32 v17, s52, 4                                // 00000000306C: D28A0011 00010834
	v_max_f32_e32 v21, v11, v12                                // 000000003074: 162A190B
	v_max3_f32 v21, v21, v13, v14                              // 000000003078: D1D30015 043A1B15
	v_max3_f32 v21, v21, v15, v16                              // 000000003080: D1D30015 04421F15
	s_nop 1                                                    // 000000003088: BF800001
	v_max_f32_dpp v4, v21, v21 quad_perm:[1,0,3,2] row_mask:0xf bank_mask:0xf// 00000000308C: 16082AFA FF00B115
	s_nop 1                                                    // 000000003094: BF800001
	v_max_f32_dpp v4, v4, v4 quad_perm:[2,3,0,1] row_mask:0xf bank_mask:0xf// 000000003098: 160808FA FF004E04
	s_nop 1                                                    // 0000000030A0: BF800001
	v_max_f32_dpp v4, v4, v4 row_shr:4 row_mask:0xf bank_mask:0xf// 0000000030A4: 160808FA FF011404
	s_nop 1                                                    // 0000000030AC: BF800001
	v_max_f32_dpp v4, v4, v4 row_shr:8 row_mask:0xf bank_mask:0xf// 0000000030B0: 160808FA FF011804
	s_nop 1                                                    // 0000000030B8: BF800001
	v_max_f32_dpp v4, v4, v4 row_bcast:15 row_mask:0xf bank_mask:0xf// 0000000030BC: 160808FA FF014204
	s_nop 1                                                    // 0000000030C4: BF800001
	v_max_f32_dpp v4, v4, v4 row_bcast:31 row_mask:0xf bank_mask:0xf// 0000000030C8: 160808FA FF014304
	s_nop 0                                                    // 0000000030D0: BF800000
	v_readlane_b32 s20, v4, 63                                 // 0000000030D4: D2890014 00017F04
	v_mov_b32_e32 v21, s20                                     // 0000000030DC: 7E2A0214
	v_add_f32_e32 v23, v23, v21                                // 0000000030E0: 022E2B17
	v_cmp_eq_f32_e64 s[24:25], v21, v11                        // 0000000030E4: D0420018 00021715
	v_cmp_eq_f32_e64 s[26:27], v21, v12                        // 0000000030EC: D042001A 00021915
	v_cmp_eq_f32_e64 s[28:29], v21, v13                        // 0000000030F4: D042001C 00021B15
	v_cmp_eq_f32_e64 s[30:31], v21, v14                        // 0000000030FC: D042001E 00021D15
	v_cmp_eq_f32_e64 s[32:33], v21, v15                        // 000000003104: D0420020 00021F15
	v_cmp_eq_f32_e64 s[34:35], v21, v16                        // 00000000310C: D0420022 00022115
	s_ff1_i32_b64 s36, s[24:25]                                // 000000003114: BEA41118
	s_ff1_i32_b64 s37, s[26:27]                                // 000000003118: BEA5111A
	s_ff1_i32_b64 s38, s[28:29]                                // 00000000311C: BEA6111C
	s_ff1_i32_b64 s39, s[30:31]                                // 000000003120: BEA7111E
	s_ff1_i32_b64 s40, s[32:33]                                // 000000003124: BEA81120
	s_ff1_i32_b64 s41, s[34:35]                                // 000000003128: BEA91122
	v_readlane_b32 s20, v21, 0                                 // 00000000312C: D2890014 00010115
	v_writelane_b32 v18, s20, 5                                // 000000003134: D28A0012 00010A14
	s_mov_b32 s22, s36                                         // 00000000313C: BE960024
	s_cmp_eq_u32 s36, -1                                       // 000000003140: BF06C124
	s_cselect_b32 s21, 1, 0                                    // 000000003144: 85158081
	s_cbranch_scc0 label_056D                                  // 000000003148: BF84001A
	s_add_u32 s53, s21, s53                                    // 00000000314C: 80353515
	s_mov_b32 s22, s37                                         // 000000003150: BE960025
	s_cmp_eq_u32 s37, -1                                       // 000000003154: BF06C125
	s_cselect_b32 s21, 1, 0                                    // 000000003158: 85158081
	s_cbranch_scc0 label_056D                                  // 00000000315C: BF840015
	s_add_u32 s53, s21, s53                                    // 000000003160: 80353515
	s_mov_b32 s22, s38                                         // 000000003164: BE960026
	s_cmp_eq_u32 s38, -1                                       // 000000003168: BF06C126
	s_cselect_b32 s21, 1, 0                                    // 00000000316C: 85158081
	s_cbranch_scc0 label_056D                                  // 000000003170: BF840010
	s_add_u32 s53, s21, s53                                    // 000000003174: 80353515
	s_mov_b32 s22, s39                                         // 000000003178: BE960027
	s_cmp_eq_u32 s39, -1                                       // 00000000317C: BF06C127
	s_cselect_b32 s21, 1, 0                                    // 000000003180: 85158081
	s_cbranch_scc0 label_056D                                  // 000000003184: BF84000B
	s_add_u32 s53, s21, s53                                    // 000000003188: 80353515
	s_mov_b32 s22, s40                                         // 00000000318C: BE960028
	s_cmp_eq_u32 s40, -1                                       // 000000003190: BF06C128
	s_cselect_b32 s21, 1, 0                                    // 000000003194: 85158081
	s_cbranch_scc0 label_056D                                  // 000000003198: BF840006
	s_add_u32 s53, s21, s53                                    // 00000000319C: 80353515
	s_mov_b32 s22, s41                                         // 0000000031A0: BE960029
	s_cmp_eq_u32 s41, -1                                       // 0000000031A4: BF06C129
	s_cselect_b32 s21, 1, 0                                    // 0000000031A8: 85158081
	s_cbranch_scc0 label_056D                                  // 0000000031AC: BF840001
	s_add_u32 s53, s21, s53                                    // 0000000031B0: 80353515

00000000000031b4 <label_056D>:
	s_set_gpr_idx_on s53, gpr_idx(DST)                         // 0000000031B4: BF110835
	v_writelane_b32 v11, 0, s22                                // 0000000031B8: D28A000B 00002C80
	s_set_gpr_idx_off                                          // 0000000031C0: BF9C0000
	s_mul_i32 s53, 64, s53                                     // 0000000031C4: 923535C0
	s_add_u32 s53, s22, s53                                    // 0000000031C8: 80353516
	v_writelane_b32 v17, s53, 5                                // 0000000031CC: D28A0011 00010A35
	v_max_f32_e32 v21, v11, v12                                // 0000000031D4: 162A190B
	v_max3_f32 v21, v21, v13, v14                              // 0000000031D8: D1D30015 043A1B15
	v_max3_f32 v21, v21, v15, v16                              // 0000000031E0: D1D30015 04421F15
	s_nop 1                                                    // 0000000031E8: BF800001
	v_max_f32_dpp v4, v21, v21 quad_perm:[1,0,3,2] row_mask:0xf bank_mask:0xf// 0000000031EC: 16082AFA FF00B115
	s_nop 1                                                    // 0000000031F4: BF800001
	v_max_f32_dpp v4, v4, v4 quad_perm:[2,3,0,1] row_mask:0xf bank_mask:0xf// 0000000031F8: 160808FA FF004E04
	s_nop 1                                                    // 000000003200: BF800001
	v_max_f32_dpp v4, v4, v4 row_shr:4 row_mask:0xf bank_mask:0xf// 000000003204: 160808FA FF011404
	s_nop 1                                                    // 00000000320C: BF800001
	v_max_f32_dpp v4, v4, v4 row_shr:8 row_mask:0xf bank_mask:0xf// 000000003210: 160808FA FF011804
	s_nop 1                                                    // 000000003218: BF800001
	v_max_f32_dpp v4, v4, v4 row_bcast:15 row_mask:0xf bank_mask:0xf// 00000000321C: 160808FA FF014204
	s_nop 1                                                    // 000000003224: BF800001
	v_max_f32_dpp v4, v4, v4 row_bcast:31 row_mask:0xf bank_mask:0xf// 000000003228: 160808FA FF014304
	s_nop 0                                                    // 000000003230: BF800000
	v_readlane_b32 s20, v4, 63                                 // 000000003234: D2890014 00017F04
	v_mov_b32_e32 v21, s20                                     // 00000000323C: 7E2A0214
	v_add_f32_e32 v23, v23, v21                                // 000000003240: 022E2B17
	v_cmp_eq_f32_e64 s[24:25], v21, v11                        // 000000003244: D0420018 00021715
	v_cmp_eq_f32_e64 s[26:27], v21, v12                        // 00000000324C: D042001A 00021915
	v_cmp_eq_f32_e64 s[28:29], v21, v13                        // 000000003254: D042001C 00021B15
	v_cmp_eq_f32_e64 s[30:31], v21, v14                        // 00000000325C: D042001E 00021D15
	v_cmp_eq_f32_e64 s[32:33], v21, v15                        // 000000003264: D0420020 00021F15
	v_cmp_eq_f32_e64 s[34:35], v21, v16                        // 00000000326C: D0420022 00022115
	s_ff1_i32_b64 s36, s[24:25]                                // 000000003274: BEA41118
	s_ff1_i32_b64 s37, s[26:27]                                // 000000003278: BEA5111A
	s_ff1_i32_b64 s38, s[28:29]                                // 00000000327C: BEA6111C
	s_ff1_i32_b64 s39, s[30:31]                                // 000000003280: BEA7111E
	s_ff1_i32_b64 s40, s[32:33]                                // 000000003284: BEA81120
	s_ff1_i32_b64 s41, s[34:35]                                // 000000003288: BEA91122
	v_readlane_b32 s20, v21, 0                                 // 00000000328C: D2890014 00010115
	v_writelane_b32 v18, s20, 6                                // 000000003294: D28A0012 00010C14
	s_mov_b32 s22, s36                                         // 00000000329C: BE960024
	s_cmp_eq_u32 s36, -1                                       // 0000000032A0: BF06C124
	s_cselect_b32 s21, 1, 0                                    // 0000000032A4: 85158081
	s_cbranch_scc0 label_05C5                                  // 0000000032A8: BF84001A
	s_add_u32 s54, s21, s54                                    // 0000000032AC: 80363615
	s_mov_b32 s22, s37                                         // 0000000032B0: BE960025
	s_cmp_eq_u32 s37, -1                                       // 0000000032B4: BF06C125
	s_cselect_b32 s21, 1, 0                                    // 0000000032B8: 85158081
	s_cbranch_scc0 label_05C5                                  // 0000000032BC: BF840015
	s_add_u32 s54, s21, s54                                    // 0000000032C0: 80363615
	s_mov_b32 s22, s38                                         // 0000000032C4: BE960026
	s_cmp_eq_u32 s38, -1                                       // 0000000032C8: BF06C126
	s_cselect_b32 s21, 1, 0                                    // 0000000032CC: 85158081
	s_cbranch_scc0 label_05C5                                  // 0000000032D0: BF840010
	s_add_u32 s54, s21, s54                                    // 0000000032D4: 80363615
	s_mov_b32 s22, s39                                         // 0000000032D8: BE960027
	s_cmp_eq_u32 s39, -1                                       // 0000000032DC: BF06C127
	s_cselect_b32 s21, 1, 0                                    // 0000000032E0: 85158081
	s_cbranch_scc0 label_05C5                                  // 0000000032E4: BF84000B
	s_add_u32 s54, s21, s54                                    // 0000000032E8: 80363615
	s_mov_b32 s22, s40                                         // 0000000032EC: BE960028
	s_cmp_eq_u32 s40, -1                                       // 0000000032F0: BF06C128
	s_cselect_b32 s21, 1, 0                                    // 0000000032F4: 85158081
	s_cbranch_scc0 label_05C5                                  // 0000000032F8: BF840006
	s_add_u32 s54, s21, s54                                    // 0000000032FC: 80363615
	s_mov_b32 s22, s41                                         // 000000003300: BE960029
	s_cmp_eq_u32 s41, -1                                       // 000000003304: BF06C129
	s_cselect_b32 s21, 1, 0                                    // 000000003308: 85158081
	s_cbranch_scc0 label_05C5                                  // 00000000330C: BF840001
	s_add_u32 s54, s21, s54                                    // 000000003310: 80363615

0000000000003314 <label_05C5>:
	s_set_gpr_idx_on s54, gpr_idx(DST)                         // 000000003314: BF110836
	v_writelane_b32 v11, 0, s22                                // 000000003318: D28A000B 00002C80
	s_set_gpr_idx_off                                          // 000000003320: BF9C0000
	s_mul_i32 s54, 64, s54                                     // 000000003324: 923636C0
	s_add_u32 s54, s22, s54                                    // 000000003328: 80363616
	v_writelane_b32 v17, s54, 6                                // 00000000332C: D28A0011 00010C36
	v_max_f32_e32 v21, v11, v12                                // 000000003334: 162A190B
	v_max3_f32 v21, v21, v13, v14                              // 000000003338: D1D30015 043A1B15
	v_max3_f32 v21, v21, v15, v16                              // 000000003340: D1D30015 04421F15
	s_nop 1                                                    // 000000003348: BF800001
	v_max_f32_dpp v4, v21, v21 quad_perm:[1,0,3,2] row_mask:0xf bank_mask:0xf// 00000000334C: 16082AFA FF00B115
	s_nop 1                                                    // 000000003354: BF800001
	v_max_f32_dpp v4, v4, v4 quad_perm:[2,3,0,1] row_mask:0xf bank_mask:0xf// 000000003358: 160808FA FF004E04
	s_nop 1                                                    // 000000003360: BF800001
	v_max_f32_dpp v4, v4, v4 row_shr:4 row_mask:0xf bank_mask:0xf// 000000003364: 160808FA FF011404
	s_nop 1                                                    // 00000000336C: BF800001
	v_max_f32_dpp v4, v4, v4 row_shr:8 row_mask:0xf bank_mask:0xf// 000000003370: 160808FA FF011804
	s_nop 1                                                    // 000000003378: BF800001
	v_max_f32_dpp v4, v4, v4 row_bcast:15 row_mask:0xf bank_mask:0xf// 00000000337C: 160808FA FF014204
	s_nop 1                                                    // 000000003384: BF800001
	v_max_f32_dpp v4, v4, v4 row_bcast:31 row_mask:0xf bank_mask:0xf// 000000003388: 160808FA FF014304
	s_nop 0                                                    // 000000003390: BF800000
	v_readlane_b32 s20, v4, 63                                 // 000000003394: D2890014 00017F04
	v_mov_b32_e32 v21, s20                                     // 00000000339C: 7E2A0214
	v_add_f32_e32 v23, v23, v21                                // 0000000033A0: 022E2B17
	v_cmp_eq_f32_e64 s[24:25], v21, v11                        // 0000000033A4: D0420018 00021715
	v_cmp_eq_f32_e64 s[26:27], v21, v12                        // 0000000033AC: D042001A 00021915
	v_cmp_eq_f32_e64 s[28:29], v21, v13                        // 0000000033B4: D042001C 00021B15
	v_cmp_eq_f32_e64 s[30:31], v21, v14                        // 0000000033BC: D042001E 00021D15
	v_cmp_eq_f32_e64 s[32:33], v21, v15                        // 0000000033C4: D0420020 00021F15
	v_cmp_eq_f32_e64 s[34:35], v21, v16                        // 0000000033CC: D0420022 00022115
	s_ff1_i32_b64 s36, s[24:25]                                // 0000000033D4: BEA41118
	s_ff1_i32_b64 s37, s[26:27]                                // 0000000033D8: BEA5111A
	s_ff1_i32_b64 s38, s[28:29]                                // 0000000033DC: BEA6111C
	s_ff1_i32_b64 s39, s[30:31]                                // 0000000033E0: BEA7111E
	s_ff1_i32_b64 s40, s[32:33]                                // 0000000033E4: BEA81120
	s_ff1_i32_b64 s41, s[34:35]                                // 0000000033E8: BEA91122
	v_readlane_b32 s20, v21, 0                                 // 0000000033EC: D2890014 00010115
	v_writelane_b32 v18, s20, 7                                // 0000000033F4: D28A0012 00010E14
	s_mov_b32 s22, s36                                         // 0000000033FC: BE960024
	s_cmp_eq_u32 s36, -1                                       // 000000003400: BF06C124
	s_cselect_b32 s21, 1, 0                                    // 000000003404: 85158081
	s_cbranch_scc0 label_061D                                  // 000000003408: BF84001A
	s_add_u32 s55, s21, s55                                    // 00000000340C: 80373715
	s_mov_b32 s22, s37                                         // 000000003410: BE960025
	s_cmp_eq_u32 s37, -1                                       // 000000003414: BF06C125
	s_cselect_b32 s21, 1, 0                                    // 000000003418: 85158081
	s_cbranch_scc0 label_061D                                  // 00000000341C: BF840015
	s_add_u32 s55, s21, s55                                    // 000000003420: 80373715
	s_mov_b32 s22, s38                                         // 000000003424: BE960026
	s_cmp_eq_u32 s38, -1                                       // 000000003428: BF06C126
	s_cselect_b32 s21, 1, 0                                    // 00000000342C: 85158081
	s_cbranch_scc0 label_061D                                  // 000000003430: BF840010
	s_add_u32 s55, s21, s55                                    // 000000003434: 80373715
	s_mov_b32 s22, s39                                         // 000000003438: BE960027
	s_cmp_eq_u32 s39, -1                                       // 00000000343C: BF06C127
	s_cselect_b32 s21, 1, 0                                    // 000000003440: 85158081
	s_cbranch_scc0 label_061D                                  // 000000003444: BF84000B
	s_add_u32 s55, s21, s55                                    // 000000003448: 80373715
	s_mov_b32 s22, s40                                         // 00000000344C: BE960028
	s_cmp_eq_u32 s40, -1                                       // 000000003450: BF06C128
	s_cselect_b32 s21, 1, 0                                    // 000000003454: 85158081
	s_cbranch_scc0 label_061D                                  // 000000003458: BF840006
	s_add_u32 s55, s21, s55                                    // 00000000345C: 80373715
	s_mov_b32 s22, s41                                         // 000000003460: BE960029
	s_cmp_eq_u32 s41, -1                                       // 000000003464: BF06C129
	s_cselect_b32 s21, 1, 0                                    // 000000003468: 85158081
	s_cbranch_scc0 label_061D                                  // 00000000346C: BF840001
	s_add_u32 s55, s21, s55                                    // 000000003470: 80373715

0000000000003474 <label_061D>:
	s_set_gpr_idx_on s55, gpr_idx(DST)                         // 000000003474: BF110837
	v_writelane_b32 v11, 0, s22                                // 000000003478: D28A000B 00002C80
	s_set_gpr_idx_off                                          // 000000003480: BF9C0000
	s_mul_i32 s55, 64, s55                                     // 000000003484: 923737C0
	s_add_u32 s55, s22, s55                                    // 000000003488: 80373716
	v_writelane_b32 v17, s55, 7                                // 00000000348C: D28A0011 00010E37
	s_bfm_b64 exec, s18, 0                                     // 000000003494: 91FE8012
	buffer_store_dword v17, v9, s[4:7], 0 offen                // 000000003498: E0701000 80011109
	v_rcp_f32_e32 v23, v23                                     // 0000000034A0: 7E2E4517
	s_nop 0                                                    // 0000000034A4: BF800000
	v_mul_f32_e32 v18, v18, v23                                // 0000000034A8: 0A242F12
	buffer_store_dword v18, v10, s[8:11], 0 offen              // 0000000034AC: E0701000 8002120A

00000000000034b4 <label_062D>:
	s_waitcnt vmcnt(0) expcnt(0) lgkmcnt(0)                    // 0000000034B4: BF8C0000
	s_endpgm                                                   // 0000000034B8: BF810000
